;; amdgpu-corpus repo=ROCm/rocFFT kind=compiled arch=gfx906 opt=O3
	.text
	.amdgcn_target "amdgcn-amd-amdhsa--gfx906"
	.amdhsa_code_object_version 6
	.protected	fft_rtc_fwd_len578_factors_17_17_2_wgs_238_tpt_34_halfLds_half_op_CI_CI_unitstride_sbrr_R2C_dirReg ; -- Begin function fft_rtc_fwd_len578_factors_17_17_2_wgs_238_tpt_34_halfLds_half_op_CI_CI_unitstride_sbrr_R2C_dirReg
	.globl	fft_rtc_fwd_len578_factors_17_17_2_wgs_238_tpt_34_halfLds_half_op_CI_CI_unitstride_sbrr_R2C_dirReg
	.p2align	8
	.type	fft_rtc_fwd_len578_factors_17_17_2_wgs_238_tpt_34_halfLds_half_op_CI_CI_unitstride_sbrr_R2C_dirReg,@function
fft_rtc_fwd_len578_factors_17_17_2_wgs_238_tpt_34_halfLds_half_op_CI_CI_unitstride_sbrr_R2C_dirReg: ; @fft_rtc_fwd_len578_factors_17_17_2_wgs_238_tpt_34_halfLds_half_op_CI_CI_unitstride_sbrr_R2C_dirReg
; %bb.0:
	s_load_dwordx4 s[8:11], s[4:5], 0x58
	s_load_dwordx4 s[12:15], s[4:5], 0x0
	;; [unrolled: 1-line block ×3, first 2 shown]
	v_mul_u32_u24_e32 v1, 0x788, v0
	v_lshrrev_b32_e32 v1, 16, v1
	v_mad_u64_u32 v[6:7], s[0:1], s6, 7, v[1:2]
	v_mov_b32_e32 v10, 0
	v_mov_b32_e32 v1, 0
	;; [unrolled: 1-line block ×3, first 2 shown]
	s_waitcnt lgkmcnt(0)
	v_cmp_lt_u64_e64 s[0:1], s[14:15], 2
	v_mov_b32_e32 v2, 0
	v_mov_b32_e32 v5, v2
	;; [unrolled: 1-line block ×3, first 2 shown]
	s_and_b64 vcc, exec, s[0:1]
	v_mov_b32_e32 v4, v1
	v_mov_b32_e32 v8, v6
	s_cbranch_vccnz .LBB0_8
; %bb.1:
	s_load_dwordx2 s[0:1], s[4:5], 0x10
	s_add_u32 s2, s18, 8
	s_addc_u32 s3, s19, 0
	s_add_u32 s6, s16, 8
	v_mov_b32_e32 v1, 0
	s_addc_u32 s7, s17, 0
	v_mov_b32_e32 v2, 0
	s_waitcnt lgkmcnt(0)
	s_add_u32 s20, s0, 8
	v_mov_b32_e32 v5, v2
	v_mov_b32_e32 v13, v7
	s_addc_u32 s21, s1, 0
	s_mov_b64 s[22:23], 1
	v_mov_b32_e32 v4, v1
	v_mov_b32_e32 v12, v6
.LBB0_2:                                ; =>This Inner Loop Header: Depth=1
	s_load_dwordx2 s[24:25], s[20:21], 0x0
                                        ; implicit-def: $vgpr8_vgpr9
	s_waitcnt lgkmcnt(0)
	v_or_b32_e32 v11, s25, v13
	v_cmp_ne_u64_e32 vcc, 0, v[10:11]
	s_and_saveexec_b64 s[0:1], vcc
	s_xor_b64 s[26:27], exec, s[0:1]
	s_cbranch_execz .LBB0_4
; %bb.3:                                ;   in Loop: Header=BB0_2 Depth=1
	v_cvt_f32_u32_e32 v3, s24
	v_cvt_f32_u32_e32 v7, s25
	s_sub_u32 s0, 0, s24
	s_subb_u32 s1, 0, s25
	v_mac_f32_e32 v3, 0x4f800000, v7
	v_rcp_f32_e32 v3, v3
	v_mul_f32_e32 v3, 0x5f7ffffc, v3
	v_mul_f32_e32 v7, 0x2f800000, v3
	v_trunc_f32_e32 v7, v7
	v_mac_f32_e32 v3, 0xcf800000, v7
	v_cvt_u32_f32_e32 v7, v7
	v_cvt_u32_f32_e32 v3, v3
	v_mul_lo_u32 v8, s0, v7
	v_mul_hi_u32 v9, s0, v3
	v_mul_lo_u32 v14, s1, v3
	v_mul_lo_u32 v11, s0, v3
	v_add_u32_e32 v8, v9, v8
	v_add_u32_e32 v8, v8, v14
	v_mul_hi_u32 v9, v3, v11
	v_mul_lo_u32 v14, v3, v8
	v_mul_hi_u32 v16, v3, v8
	v_mul_hi_u32 v15, v7, v11
	v_mul_lo_u32 v11, v7, v11
	v_mul_hi_u32 v17, v7, v8
	v_add_co_u32_e32 v9, vcc, v9, v14
	v_addc_co_u32_e32 v14, vcc, 0, v16, vcc
	v_mul_lo_u32 v8, v7, v8
	v_add_co_u32_e32 v9, vcc, v9, v11
	v_addc_co_u32_e32 v9, vcc, v14, v15, vcc
	v_addc_co_u32_e32 v11, vcc, 0, v17, vcc
	v_add_co_u32_e32 v8, vcc, v9, v8
	v_addc_co_u32_e32 v9, vcc, 0, v11, vcc
	v_add_co_u32_e32 v3, vcc, v3, v8
	v_addc_co_u32_e32 v7, vcc, v7, v9, vcc
	v_mul_lo_u32 v8, s0, v7
	v_mul_hi_u32 v9, s0, v3
	v_mul_lo_u32 v11, s1, v3
	v_mul_lo_u32 v14, s0, v3
	v_add_u32_e32 v8, v9, v8
	v_add_u32_e32 v8, v8, v11
	v_mul_lo_u32 v15, v3, v8
	v_mul_hi_u32 v16, v3, v14
	v_mul_hi_u32 v17, v3, v8
	;; [unrolled: 1-line block ×3, first 2 shown]
	v_mul_lo_u32 v14, v7, v14
	v_mul_hi_u32 v9, v7, v8
	v_add_co_u32_e32 v15, vcc, v16, v15
	v_addc_co_u32_e32 v16, vcc, 0, v17, vcc
	v_mul_lo_u32 v8, v7, v8
	v_add_co_u32_e32 v14, vcc, v15, v14
	v_addc_co_u32_e32 v11, vcc, v16, v11, vcc
	v_addc_co_u32_e32 v9, vcc, 0, v9, vcc
	v_add_co_u32_e32 v8, vcc, v11, v8
	v_addc_co_u32_e32 v9, vcc, 0, v9, vcc
	v_add_co_u32_e32 v3, vcc, v3, v8
	v_addc_co_u32_e32 v9, vcc, v7, v9, vcc
	v_mad_u64_u32 v[7:8], s[0:1], v12, v9, 0
	v_mul_hi_u32 v11, v12, v3
	v_mad_u64_u32 v[14:15], s[0:1], v13, v9, 0
	v_add_co_u32_e32 v11, vcc, v11, v7
	v_addc_co_u32_e32 v16, vcc, 0, v8, vcc
	v_mad_u64_u32 v[7:8], s[0:1], v13, v3, 0
	v_add_co_u32_e32 v3, vcc, v11, v7
	v_addc_co_u32_e32 v3, vcc, v16, v8, vcc
	v_addc_co_u32_e32 v7, vcc, 0, v15, vcc
	v_add_co_u32_e32 v3, vcc, v3, v14
	v_addc_co_u32_e32 v9, vcc, 0, v7, vcc
	v_mul_lo_u32 v11, s25, v3
	v_mul_lo_u32 v14, s24, v9
	v_mad_u64_u32 v[7:8], s[0:1], s24, v3, 0
	v_add3_u32 v8, v8, v14, v11
	v_sub_u32_e32 v11, v13, v8
	v_mov_b32_e32 v14, s25
	v_sub_co_u32_e32 v7, vcc, v12, v7
	v_subb_co_u32_e64 v11, s[0:1], v11, v14, vcc
	v_subrev_co_u32_e64 v14, s[0:1], s24, v7
	v_subbrev_co_u32_e64 v11, s[0:1], 0, v11, s[0:1]
	v_cmp_le_u32_e64 s[0:1], s25, v11
	v_cndmask_b32_e64 v15, 0, -1, s[0:1]
	v_cmp_le_u32_e64 s[0:1], s24, v14
	v_cndmask_b32_e64 v14, 0, -1, s[0:1]
	v_cmp_eq_u32_e64 s[0:1], s25, v11
	v_cndmask_b32_e64 v11, v15, v14, s[0:1]
	v_add_co_u32_e64 v14, s[0:1], 2, v3
	v_addc_co_u32_e64 v15, s[0:1], 0, v9, s[0:1]
	v_add_co_u32_e64 v16, s[0:1], 1, v3
	v_addc_co_u32_e64 v17, s[0:1], 0, v9, s[0:1]
	v_subb_co_u32_e32 v8, vcc, v13, v8, vcc
	v_cmp_ne_u32_e64 s[0:1], 0, v11
	v_cmp_le_u32_e32 vcc, s25, v8
	v_cndmask_b32_e64 v11, v17, v15, s[0:1]
	v_cndmask_b32_e64 v15, 0, -1, vcc
	v_cmp_le_u32_e32 vcc, s24, v7
	v_cndmask_b32_e64 v7, 0, -1, vcc
	v_cmp_eq_u32_e32 vcc, s25, v8
	v_cndmask_b32_e32 v7, v15, v7, vcc
	v_cmp_ne_u32_e32 vcc, 0, v7
	v_cndmask_b32_e64 v7, v16, v14, s[0:1]
	v_cndmask_b32_e32 v9, v9, v11, vcc
	v_cndmask_b32_e32 v8, v3, v7, vcc
.LBB0_4:                                ;   in Loop: Header=BB0_2 Depth=1
	s_andn2_saveexec_b64 s[0:1], s[26:27]
	s_cbranch_execz .LBB0_6
; %bb.5:                                ;   in Loop: Header=BB0_2 Depth=1
	v_cvt_f32_u32_e32 v3, s24
	s_sub_i32 s26, 0, s24
	v_rcp_iflag_f32_e32 v3, v3
	v_mul_f32_e32 v3, 0x4f7ffffe, v3
	v_cvt_u32_f32_e32 v3, v3
	v_mul_lo_u32 v7, s26, v3
	v_mul_hi_u32 v7, v3, v7
	v_add_u32_e32 v3, v3, v7
	v_mul_hi_u32 v3, v12, v3
	v_mul_lo_u32 v7, v3, s24
	v_add_u32_e32 v8, 1, v3
	v_sub_u32_e32 v7, v12, v7
	v_subrev_u32_e32 v9, s24, v7
	v_cmp_le_u32_e32 vcc, s24, v7
	v_cndmask_b32_e32 v7, v7, v9, vcc
	v_cndmask_b32_e32 v3, v3, v8, vcc
	v_add_u32_e32 v8, 1, v3
	v_cmp_le_u32_e32 vcc, s24, v7
	v_cndmask_b32_e32 v8, v3, v8, vcc
	v_mov_b32_e32 v9, v10
.LBB0_6:                                ;   in Loop: Header=BB0_2 Depth=1
	s_or_b64 exec, exec, s[0:1]
	v_mul_lo_u32 v3, v9, s24
	v_mul_lo_u32 v7, v8, s25
	v_mad_u64_u32 v[14:15], s[0:1], v8, s24, 0
	s_load_dwordx2 s[0:1], s[6:7], 0x0
	s_load_dwordx2 s[24:25], s[2:3], 0x0
	v_add3_u32 v3, v15, v7, v3
	v_sub_co_u32_e32 v7, vcc, v12, v14
	v_subb_co_u32_e32 v3, vcc, v13, v3, vcc
	s_waitcnt lgkmcnt(0)
	v_mul_lo_u32 v11, s0, v3
	v_mul_lo_u32 v12, s1, v7
	v_mad_u64_u32 v[1:2], s[0:1], s0, v7, v[1:2]
	s_add_u32 s22, s22, 1
	s_addc_u32 s23, s23, 0
	s_add_u32 s2, s2, 8
	v_mul_lo_u32 v3, s24, v3
	v_mul_lo_u32 v13, s25, v7
	v_mad_u64_u32 v[4:5], s[0:1], s24, v7, v[4:5]
	v_add3_u32 v2, v12, v2, v11
	s_addc_u32 s3, s3, 0
	v_mov_b32_e32 v11, s14
	s_add_u32 s6, s6, 8
	v_mov_b32_e32 v12, s15
	s_addc_u32 s7, s7, 0
	v_cmp_ge_u64_e32 vcc, s[22:23], v[11:12]
	s_add_u32 s20, s20, 8
	v_add3_u32 v5, v13, v5, v3
	s_addc_u32 s21, s21, 0
	s_cbranch_vccnz .LBB0_8
; %bb.7:                                ;   in Loop: Header=BB0_2 Depth=1
	v_mov_b32_e32 v13, v9
	v_mov_b32_e32 v12, v8
	s_branch .LBB0_2
.LBB0_8:
	s_mov_b32 s0, 0x24924925
	v_mul_hi_u32 v3, v6, s0
	s_load_dwordx2 s[0:1], s[4:5], 0x28
	s_lshl_b64 s[6:7], s[14:15], 3
	s_add_u32 s2, s18, s6
	v_sub_u32_e32 v7, v6, v3
	v_lshrrev_b32_e32 v7, 1, v7
	v_add_u32_e32 v3, v7, v3
	v_lshrrev_b32_e32 v3, 2, v3
	v_mul_lo_u32 v3, v3, 7
	s_waitcnt lgkmcnt(0)
	v_cmp_gt_u64_e32 vcc, s[0:1], v[8:9]
	v_cmp_le_u64_e64 s[0:1], s[0:1], v[8:9]
	s_addc_u32 s3, s19, s7
	v_sub_u32_e32 v3, v6, v3
                                        ; implicit-def: $vgpr6
                                        ; implicit-def: $vgpr17
                                        ; implicit-def: $vgpr16
                                        ; implicit-def: $vgpr15
                                        ; implicit-def: $vgpr14
                                        ; implicit-def: $vgpr13
                                        ; implicit-def: $vgpr12
                                        ; implicit-def: $vgpr11
                                        ; implicit-def: $vgpr10
	s_and_saveexec_b64 s[4:5], s[0:1]
	s_xor_b64 s[0:1], exec, s[4:5]
	s_cbranch_execz .LBB0_10
; %bb.9:
	s_mov_b32 s4, 0x7878788
	v_mul_hi_u32 v1, v0, s4
	v_mul_u32_u24_e32 v1, 34, v1
	v_sub_u32_e32 v6, v0, v1
	v_add_u32_e32 v17, 34, v6
	v_add_u32_e32 v16, 0x44, v6
	v_add_u32_e32 v15, 0x66, v6
	v_add_u32_e32 v14, 0x88, v6
	v_add_u32_e32 v13, 0xaa, v6
	v_add_u32_e32 v12, 0xcc, v6
	v_add_u32_e32 v11, 0xee, v6
	v_add_u32_e32 v10, 0x110, v6
                                        ; implicit-def: $vgpr0
                                        ; implicit-def: $vgpr1_vgpr2
.LBB0_10:
	s_or_saveexec_b64 s[4:5], s[0:1]
	v_mul_u32_u24_e32 v3, 0x243, v3
	v_lshlrev_b32_e32 v24, 2, v3
	s_xor_b64 exec, exec, s[4:5]
	s_cbranch_execz .LBB0_12
; %bb.11:
	s_add_u32 s0, s16, s6
	s_addc_u32 s1, s17, s7
	s_load_dwordx2 s[0:1], s[0:1], 0x0
	s_mov_b32 s6, 0x7878788
	v_mul_hi_u32 v3, v0, s6
	s_waitcnt lgkmcnt(0)
	v_mul_lo_u32 v7, s1, v8
	v_mul_lo_u32 v12, s0, v9
	v_mad_u64_u32 v[10:11], s[0:1], s0, v8, 0
	v_mul_u32_u24_e32 v3, 34, v3
	v_sub_u32_e32 v6, v0, v3
	v_add3_u32 v11, v11, v12, v7
	v_lshlrev_b64 v[10:11], 2, v[10:11]
	v_mov_b32_e32 v0, s9
	v_add_co_u32_e64 v3, s[0:1], s8, v10
	v_addc_co_u32_e64 v7, s[0:1], v0, v11, s[0:1]
	v_lshlrev_b64 v[0:1], 2, v[1:2]
	v_lshlrev_b32_e32 v2, 2, v6
	v_add_co_u32_e64 v0, s[0:1], v3, v0
	v_addc_co_u32_e64 v1, s[0:1], v7, v1, s[0:1]
	v_add_co_u32_e64 v0, s[0:1], v0, v2
	v_addc_co_u32_e64 v1, s[0:1], 0, v1, s[0:1]
	global_load_dword v3, v[0:1], off
	global_load_dword v7, v[0:1], off offset:136
	global_load_dword v10, v[0:1], off offset:272
	;; [unrolled: 1-line block ×16, first 2 shown]
	v_add3_u32 v0, 0, v24, v2
	v_add_u32_e32 v17, 34, v6
	v_add_u32_e32 v16, 0x44, v6
	;; [unrolled: 1-line block ×8, first 2 shown]
	s_waitcnt vmcnt(15)
	ds_write2_b32 v0, v3, v7 offset1:34
	s_waitcnt vmcnt(13)
	ds_write2_b32 v0, v10, v18 offset0:68 offset1:102
	s_waitcnt vmcnt(11)
	ds_write2_b32 v0, v19, v20 offset0:136 offset1:170
	;; [unrolled: 2-line block ×7, first 2 shown]
	s_waitcnt vmcnt(0)
	ds_write_b32 v0, v32 offset:2176
	v_add_u32_e32 v10, 0x110, v6
.LBB0_12:
	s_or_b64 exec, exec, s[4:5]
	v_lshlrev_b32_e32 v36, 2, v6
	v_add3_u32 v37, 0, v36, v24
	v_add_u32_e32 v34, 0, v24
	v_add_u32_e32 v0, 0x200, v37
	;; [unrolled: 1-line block ×3, first 2 shown]
	s_load_dwordx2 s[4:5], s[2:3], 0x0
	s_waitcnt lgkmcnt(0)
	s_barrier
	v_add_u32_e32 v35, v34, v36
	ds_read2_b32 v[26:27], v37 offset0:34 offset1:68
	ds_read2_b32 v[0:1], v0 offset0:110 offset1:144
	;; [unrolled: 1-line block ×5, first 2 shown]
	ds_read_b32 v19, v35
	v_add_u32_e32 v18, 0x600, v37
	ds_read2_b32 v[32:33], v37 offset0:102 offset1:136
	ds_read2_b32 v[28:29], v18 offset0:126 offset1:160
	;; [unrolled: 1-line block ×3, first 2 shown]
	s_mov_b32 s2, 0xb5c8
	s_movk_i32 s15, 0x3b76
	s_waitcnt lgkmcnt(3)
	v_pk_add_f16 v20, v19, v26
	v_pk_add_f16 v20, v20, v27
	s_waitcnt lgkmcnt(2)
	v_pk_add_f16 v20, v20, v32
	v_pk_add_f16 v20, v20, v33
	;; [unrolled: 3-line block ×3, first 2 shown]
	v_pk_add_f16 v20, v20, v0
	v_pk_add_f16 v20, v20, v1
	;; [unrolled: 1-line block ×10, first 2 shown]
	v_pk_add_f16 v20, v26, v29 neg_lo:[0,1] neg_hi:[0,1]
	v_pk_add_f16 v22, v29, v26
	v_mul_f16_sdwa v44, v20, s2 dst_sel:DWORD dst_unused:UNUSED_PAD src0_sel:WORD_1 src1_sel:DWORD
	v_fma_f16 v23, v22, s15, -v44
	s_mov_b32 s0, 0x3b7639e9
	v_add_f16_e32 v29, v19, v23
	v_pk_mul_f16 v23, v22, s0
	s_mov_b32 s0, 0xb964b5c8
	v_pk_fma_f16 v25, v20, s0, v23 op_sel:[0,0,1] op_sel_hi:[1,1,0] neg_lo:[1,0,0] neg_hi:[1,0,0]
	v_pk_fma_f16 v46, v20, s0, v23 op_sel:[0,0,1] op_sel_hi:[1,1,0]
	s_mov_b32 s6, 0xffff
	v_bfi_b32 v23, s6, v46, v25
	v_lshrrev_b32_e32 v47, 16, v22
	v_mul_f16_e32 v49, 0xb964, v20
	s_movk_i32 s9, 0x39e9
	v_pk_add_f16 v38, v19, v23 op_sel:[1,0] op_sel_hi:[0,1]
	v_fma_f16 v23, v47, s9, v49
	s_mov_b32 s19, 0xb964
	v_add_f16_sdwa v39, v19, v23 dst_sel:DWORD dst_unused:UNUSED_PAD src0_sel:WORD_1 src1_sel:DWORD
	v_pk_add_f16 v23, v27, v28 neg_lo:[0,1] neg_hi:[0,1]
	v_pk_add_f16 v26, v28, v27
	v_mul_f16_sdwa v57, v23, s19 dst_sel:DWORD dst_unused:UNUSED_PAD src0_sel:WORD_1 src1_sel:DWORD
	v_fma_f16 v27, v26, s9, -v57
	s_mov_b32 s18, 0x39e92de8
	v_add_f16_e32 v48, v27, v29
	v_pk_mul_f16 v27, v26, s18
	s_mov_b32 s18, 0xbbf7b964
	v_pk_fma_f16 v29, v23, s18, v27 op_sel:[0,0,1] op_sel_hi:[1,1,0] neg_lo:[1,0,0] neg_hi:[1,0,0]
	v_pk_fma_f16 v59, v23, s18, v27 op_sel:[0,0,1] op_sel_hi:[1,1,0]
	s_movk_i32 s7, 0x2de8
	v_bfi_b32 v27, s6, v59, v29
	v_lshrrev_b32_e32 v45, 16, v26
	v_mul_f16_e32 v61, 0xbbf7, v23
	v_pk_add_f16 v38, v27, v38
	v_fma_f16 v27, v45, s7, v61
	s_mov_b32 s20, 0xbb29
	v_add_f16_e32 v39, v27, v39
	v_pk_add_f16 v27, v32, v31 neg_lo:[0,1] neg_hi:[0,1]
	s_movk_i32 s8, 0x3722
	v_pk_add_f16 v28, v31, v32
	v_mul_f16_sdwa v52, v27, s20 dst_sel:DWORD dst_unused:UNUSED_PAD src0_sel:WORD_1 src1_sel:DWORD
	v_fma_f16 v31, v28, s8, -v52
	s_mov_b32 s21, 0x3722b8d2
	v_add_f16_e32 v50, v31, v48
	v_pk_mul_f16 v31, v28, s21
	s_mov_b32 s21, 0xba62bb29
	v_pk_fma_f16 v32, v27, s21, v31 op_sel:[0,0,1] op_sel_hi:[1,1,0] neg_lo:[1,0,0] neg_hi:[1,0,0]
	v_pk_fma_f16 v54, v27, s21, v31 op_sel:[0,0,1] op_sel_hi:[1,1,0]
	s_mov_b32 s16, 0xb8d2
	v_bfi_b32 v31, s6, v54, v32
	v_lshrrev_b32_e32 v48, 16, v28
	v_mul_f16_e32 v55, 0xba62, v27
	v_pk_add_f16 v38, v31, v38
	v_fma_f16 v31, v48, s16, v55
	s_mov_b32 s3, 0xbbf7
	v_add_f16_e32 v51, v31, v39
	v_pk_add_f16 v31, v30, v33
	v_pk_add_f16 v30, v33, v30 neg_lo:[0,1] neg_hi:[0,1]
	v_mul_f16_sdwa v56, v30, s3 dst_sel:DWORD dst_unused:UNUSED_PAD src0_sel:WORD_1 src1_sel:DWORD
	v_fma_f16 v33, v31, s7, -v56
	s_mov_b32 s21, 0x2de8bbdd
	v_add_f16_e32 v53, v33, v50
	v_pk_mul_f16 v33, v31, s21
	s_mov_b32 s21, 0xb1e1bbf7
	v_pk_fma_f16 v39, v30, s21, v33 op_sel:[0,0,1] op_sel_hi:[1,1,0] neg_lo:[1,0,0] neg_hi:[1,0,0]
	v_pk_fma_f16 v58, v30, s21, v33 op_sel:[0,0,1] op_sel_hi:[1,1,0]
	s_mov_b32 s18, 0xbbdd
	v_bfi_b32 v33, s6, v58, v39
	v_lshrrev_b32_e32 v50, 16, v31
	v_mul_f16_e32 v60, 0xb1e1, v30
	v_pk_add_f16 v64, v33, v38
	v_fma_f16 v33, v50, s18, v60
	s_mov_b32 s0, 0xbbb2
	v_add_f16_e32 v65, v33, v51
	v_pk_add_f16 v33, v42, v41 neg_lo:[0,1] neg_hi:[0,1]
	s_mov_b32 s14, 0xb461
	v_pk_add_f16 v38, v41, v42
	v_mul_f16_sdwa v62, v33, s0 dst_sel:DWORD dst_unused:UNUSED_PAD src0_sel:WORD_1 src1_sel:DWORD
	v_fma_f16 v41, v38, s14, -v62
	s_mov_b32 s21, 0xb461bacd
	v_add_f16_e32 v53, v41, v53
	v_pk_mul_f16 v41, v38, s21
	s_mov_b32 s21, 0x3836bbb2
	v_pk_fma_f16 v42, v33, s21, v41 op_sel:[0,0,1] op_sel_hi:[1,1,0] neg_lo:[1,0,0] neg_hi:[1,0,0]
	v_pk_fma_f16 v63, v33, s21, v41 op_sel:[0,0,1] op_sel_hi:[1,1,0]
	v_bfi_b32 v41, s6, v63, v42
	s_mov_b32 s1, 0xba62
	s_mov_b32 s17, 0xbacd
	v_pk_add_f16 v64, v41, v64
	v_lshrrev_b32_e32 v51, 16, v38
	v_pk_add_f16 v41, v40, v43
	v_pk_add_f16 v40, v43, v40 neg_lo:[0,1] neg_hi:[0,1]
	v_mul_f16_e32 v66, 0x3836, v33
	v_pk_add_f16 v43, v3, v0
	v_pk_add_f16 v0, v0, v3 neg_lo:[0,1] neg_hi:[0,1]
	v_pk_add_f16 v3, v2, v1
	v_pk_add_f16 v1, v1, v2 neg_lo:[0,1] neg_hi:[0,1]
	v_fma_f16 v2, v51, s17, v66
	v_mul_f16_sdwa v67, v40, s1 dst_sel:DWORD dst_unused:UNUSED_PAD src0_sel:WORD_1 src1_sel:DWORD
	v_add_f16_e32 v2, v2, v65
	v_fma_f16 v65, v41, s16, -v67
	s_mov_b32 s21, 0xb8d2b461
	v_add_f16_e32 v53, v65, v53
	v_pk_mul_f16 v65, v41, s21
	s_mov_b32 s21, 0x3bb2ba62
	v_pk_fma_f16 v68, v40, s21, v65 op_sel:[0,0,1] op_sel_hi:[1,1,0] neg_lo:[1,0,0] neg_hi:[1,0,0]
	v_pk_fma_f16 v69, v40, s21, v65 op_sel:[0,0,1] op_sel_hi:[1,1,0]
	v_bfi_b32 v65, s6, v69, v68
	v_lshrrev_b32_e32 v70, 16, v41
	v_mul_f16_e32 v71, 0x3bb2, v40
	s_mov_b32 s21, 0xb836
	v_pk_add_f16 v64, v65, v64
	v_fma_f16 v65, v70, s14, v71
	v_mul_f16_sdwa v72, v0, s21 dst_sel:DWORD dst_unused:UNUSED_PAD src0_sel:WORD_1 src1_sel:DWORD
	v_add_f16_e32 v65, v65, v2
	v_fma_f16 v2, v43, s17, -v72
	s_mov_b32 s22, 0xbacd3722
	v_add_f16_e32 v53, v2, v53
	s_mov_b32 s23, 0x3b29b836
	v_pk_mul_f16 v2, v43, s22
	v_pk_fma_f16 v73, v0, s23, v2 op_sel:[0,0,1] op_sel_hi:[1,1,0] neg_lo:[1,0,0] neg_hi:[1,0,0]
	v_pk_fma_f16 v2, v0, s23, v2 op_sel:[0,0,1] op_sel_hi:[1,1,0]
	v_bfi_b32 v74, s6, v2, v73
	v_pk_add_f16 v64, v74, v64
	v_lshrrev_b32_e32 v74, 16, v43
	v_mul_f16_e32 v75, 0x3b29, v0
	s_mov_b32 s22, 0xb1e1
	v_fma_f16 v76, v74, s8, v75
	v_mul_f16_sdwa v77, v1, s22 dst_sel:DWORD dst_unused:UNUSED_PAD src0_sel:WORD_1 src1_sel:DWORD
	v_add_f16_e32 v76, v76, v65
	v_fma_f16 v65, v3, s18, -v77
	s_mov_b32 s24, 0xbbdd3b76
	v_add_f16_e32 v78, v65, v53
	s_mov_b32 s23, 0x35c8b1e1
	v_pk_mul_f16 v53, v3, s24
	v_pk_fma_f16 v79, v1, s23, v53 op_sel:[0,0,1] op_sel_hi:[1,1,0] neg_lo:[1,0,0] neg_hi:[1,0,0]
	v_pk_fma_f16 v65, v1, s23, v53 op_sel:[0,0,1] op_sel_hi:[1,1,0]
	v_bfi_b32 v65, s6, v65, v79
	v_pk_add_f16 v64, v65, v64
	v_lshrrev_b32_e32 v65, 16, v3
	v_mul_f16_e32 v80, 0x35c8, v1
	v_fma_f16 v44, v22, s15, v44
	v_fma_f16 v81, v65, s15, v80
	v_fma_f16 v49, v47, s9, -v49
	v_add_f16_e32 v44, v19, v44
	v_fma_f16 v57, v26, s9, v57
	v_add_f16_e32 v76, v81, v76
	s_movk_i32 s24, 0x44
	v_add_f16_e32 v44, v57, v44
	v_add_f16_sdwa v49, v19, v49 dst_sel:DWORD dst_unused:UNUSED_PAD src0_sel:WORD_1 src1_sel:DWORD
	v_fma_f16 v57, v45, s7, -v61
	v_alignbit_b32 v76, v76, v64, 16
	v_pack_b32_f16 v78, v78, v64
	v_mad_u32_u24 v64, v6, s24, v34
	v_pk_add_f16 v46, v19, v46 op_sel:[1,0] op_sel_hi:[0,1]
	v_add_f16_e32 v49, v57, v49
	v_mul_f16_sdwa v57, v20, s20 dst_sel:DWORD dst_unused:UNUSED_PAD src0_sel:WORD_1 src1_sel:DWORD
	s_barrier
	ds_write2_b32 v64, v78, v76 offset0:1 offset1:2
	v_mul_f16_e32 v76, 0xbb29, v20
	v_mul_f16_e32 v81, 0xbbf7, v20
	;; [unrolled: 1-line block ×5, first 2 shown]
	v_pk_add_f16 v46, v59, v46
	v_fma_f16 v59, v22, s8, -v57
	v_mul_f16_sdwa v61, v23, s1 dst_sel:DWORD dst_unused:UNUSED_PAD src0_sel:WORD_1 src1_sel:DWORD
	v_fma_f16 v78, v47, s8, v76
	v_fma_f16 v76, v47, s8, -v76
	v_fma_f16 v82, v47, s7, v81
	v_fma_f16 v81, v47, s7, -v81
	;; [unrolled: 2-line block ×5, first 2 shown]
	v_add_f16_e32 v59, v19, v59
	v_fma_f16 v87, v26, s16, -v61
	v_fma_f16 v57, v22, s8, v57
	v_add_f16_e32 v59, v87, v59
	v_mul_f16_e32 v87, 0xba62, v23
	v_add_f16_e32 v57, v19, v57
	v_fma_f16 v61, v26, s16, v61
	v_add_f16_e32 v57, v61, v57
	v_add_f16_sdwa v61, v19, v76 dst_sel:DWORD dst_unused:UNUSED_PAD src0_sel:WORD_1 src1_sel:DWORD
	v_fma_f16 v76, v45, s16, -v87
	v_add_f16_sdwa v78, v19, v78 dst_sel:DWORD dst_unused:UNUSED_PAD src0_sel:WORD_1 src1_sel:DWORD
	v_fma_f16 v89, v45, s16, v87
	v_add_f16_e32 v61, v76, v61
	v_mul_f16_sdwa v76, v20, s3 dst_sel:DWORD dst_unused:UNUSED_PAD src0_sel:WORD_1 src1_sel:DWORD
	v_add_f16_e32 v78, v89, v78
	v_fma_f16 v87, v22, s7, -v76
	v_mul_f16_sdwa v89, v23, s22 dst_sel:DWORD dst_unused:UNUSED_PAD src0_sel:WORD_1 src1_sel:DWORD
	v_add_f16_e32 v87, v19, v87
	v_fma_f16 v90, v26, s18, -v89
	v_fma_f16 v76, v22, s7, v76
	v_add_f16_e32 v87, v90, v87
	v_mul_f16_e32 v90, 0xb1e1, v23
	v_add_f16_e32 v76, v19, v76
	v_fma_f16 v89, v26, s18, v89
	v_add_f16_e32 v76, v89, v76
	v_add_f16_sdwa v81, v19, v81 dst_sel:DWORD dst_unused:UNUSED_PAD src0_sel:WORD_1 src1_sel:DWORD
	v_fma_f16 v89, v45, s18, -v90
	v_add_f16_sdwa v82, v19, v82 dst_sel:DWORD dst_unused:UNUSED_PAD src0_sel:WORD_1 src1_sel:DWORD
	v_fma_f16 v91, v45, s18, v90
	v_add_f16_e32 v81, v89, v81
	v_mul_f16_sdwa v89, v20, s0 dst_sel:DWORD dst_unused:UNUSED_PAD src0_sel:WORD_1 src1_sel:DWORD
	s_movk_i32 s24, 0x3836
	v_add_f16_e32 v82, v91, v82
	v_fma_f16 v90, v22, s14, -v89
	v_mul_f16_sdwa v91, v23, s24 dst_sel:DWORD dst_unused:UNUSED_PAD src0_sel:WORD_1 src1_sel:DWORD
	v_add_f16_e32 v90, v19, v90
	v_fma_f16 v92, v26, s17, -v91
	v_fma_f16 v89, v22, s14, v89
	v_add_f16_e32 v90, v92, v90
	v_mul_f16_e32 v92, 0x3836, v23
	v_add_f16_e32 v89, v19, v89
	v_fma_f16 v91, v26, s17, v91
	v_add_f16_e32 v89, v91, v89
	v_add_f16_sdwa v83, v19, v83 dst_sel:DWORD dst_unused:UNUSED_PAD src0_sel:WORD_1 src1_sel:DWORD
	v_fma_f16 v91, v45, s17, -v92
	v_add_f16_sdwa v84, v19, v84 dst_sel:DWORD dst_unused:UNUSED_PAD src0_sel:WORD_1 src1_sel:DWORD
	v_fma_f16 v93, v45, s17, v92
	v_add_f16_e32 v83, v91, v83
	v_mul_f16_sdwa v91, v20, s1 dst_sel:DWORD dst_unused:UNUSED_PAD src0_sel:WORD_1 src1_sel:DWORD
	s_movk_i32 s26, 0x3bb2
	;; [unrolled: 18-line block ×3, first 2 shown]
	v_add_f16_e32 v86, v95, v86
	v_fma_f16 v94, v22, s17, -v93
	v_mul_f16_sdwa v95, v23, s24 dst_sel:DWORD dst_unused:UNUSED_PAD src0_sel:WORD_1 src1_sel:DWORD
	v_add_f16_e32 v94, v19, v94
	v_fma_f16 v96, v26, s8, -v95
	v_add_f16_e32 v94, v96, v94
	v_mul_f16_e32 v96, 0x3b29, v23
	v_fma_f16 v97, v45, s8, v96
	v_fma_f16 v45, v45, s8, -v96
	v_add_f16_sdwa v47, v19, v47 dst_sel:DWORD dst_unused:UNUSED_PAD src0_sel:WORD_1 src1_sel:DWORD
	v_add_f16_e32 v45, v45, v47
	v_fma_f16 v47, v28, s8, v52
	v_add_f16_e32 v44, v47, v44
	v_pk_add_f16 v46, v54, v46
	v_fma_f16 v47, v48, s16, -v55
	s_movk_i32 s25, 0x31e1
	v_mul_f16_e32 v54, 0x31e1, v27
	v_add_f16_e32 v47, v47, v49
	v_mul_f16_sdwa v49, v27, s25 dst_sel:DWORD dst_unused:UNUSED_PAD src0_sel:WORD_1 src1_sel:DWORD
	v_fma_f16 v55, v48, s18, v54
	v_fma_f16 v54, v48, s18, -v54
	v_fma_f16 v52, v28, s18, -v49
	v_fma_f16 v49, v28, s18, v49
	v_add_f16_e32 v54, v54, v61
	v_mul_f16_e32 v61, 0x3bb2, v27
	v_add_f16_e32 v55, v55, v78
	v_add_f16_e32 v49, v49, v57
	v_mul_f16_sdwa v57, v27, s26 dst_sel:DWORD dst_unused:UNUSED_PAD src0_sel:WORD_1 src1_sel:DWORD
	v_fma_f16 v78, v48, s14, v61
	v_add_f16_e32 v52, v52, v59
	v_fma_f16 v59, v28, s14, -v57
	v_add_f16_e32 v78, v78, v82
	v_mul_f16_e32 v82, 0x3964, v27
	v_add_f16_e32 v59, v59, v87
	v_fma_f16 v57, v28, s14, v57
	s_movk_i32 s25, 0x3964
	v_fma_f16 v87, v48, s9, v82
	v_fma_f16 v82, v48, s9, -v82
	v_add_f16_e32 v57, v57, v76
	v_fma_f16 v61, v48, s14, -v61
	v_mul_f16_sdwa v76, v27, s25 dst_sel:DWORD dst_unused:UNUSED_PAD src0_sel:WORD_1 src1_sel:DWORD
	v_add_f16_e32 v82, v82, v83
	v_mul_f16_sdwa v83, v27, s2 dst_sel:DWORD dst_unused:UNUSED_PAD src0_sel:WORD_1 src1_sel:DWORD
	v_add_f16_e32 v61, v61, v81
	v_fma_f16 v81, v28, s9, -v76
	v_add_f16_e32 v84, v87, v84
	v_fma_f16 v76, v28, s9, v76
	v_fma_f16 v87, v28, s15, -v83
	v_fma_f16 v83, v28, s15, v83
	v_add_f16_e32 v76, v76, v89
	v_mul_f16_e32 v89, 0xb5c8, v27
	v_add_f16_e32 v83, v83, v91
	v_mul_f16_e32 v91, 0xbbf7, v27
	v_add_f16_e32 v81, v81, v90
	v_add_f16_e32 v87, v87, v92
	v_fma_f16 v90, v48, s15, v89
	v_fma_f16 v89, v48, s15, -v89
	v_fma_f16 v92, v48, s7, v91
	v_fma_f16 v48, v48, s7, -v91
	v_add_f16_e32 v45, v48, v45
	v_fma_f16 v48, v31, s7, v56
	v_add_f16_e32 v44, v48, v44
	v_fma_f16 v48, v50, s18, -v60
	v_add_f16_e32 v47, v48, v47
	v_mul_f16_sdwa v48, v30, s26 dst_sel:DWORD dst_unused:UNUSED_PAD src0_sel:WORD_1 src1_sel:DWORD
	v_fma_f16 v56, v31, s14, -v48
	v_add_f16_e32 v52, v56, v52
	v_mul_f16_e32 v56, 0x3bb2, v30
	v_fma_f16 v48, v31, s14, v48
	v_add_f16_e32 v48, v48, v49
	v_fma_f16 v49, v50, s14, -v56
	s_movk_i32 s26, 0x35c8
	v_pk_add_f16 v46, v58, v46
	v_fma_f16 v58, v50, s14, v56
	v_add_f16_e32 v49, v49, v54
	v_mul_f16_sdwa v54, v30, s26 dst_sel:DWORD dst_unused:UNUSED_PAD src0_sel:WORD_1 src1_sel:DWORD
	v_add_f16_e32 v55, v58, v55
	v_fma_f16 v56, v31, s15, -v54
	v_mul_f16_e32 v58, 0x35c8, v30
	v_fma_f16 v54, v31, s15, v54
	v_add_f16_e32 v54, v54, v57
	v_fma_f16 v57, v50, s15, -v58
	v_add_f16_e32 v56, v56, v59
	v_fma_f16 v59, v50, s15, v58
	v_add_f16_e32 v57, v57, v61
	v_mul_f16_e32 v61, 0xbb29, v30
	v_add_f16_e32 v59, v59, v78
	v_mul_f16_sdwa v58, v30, s20 dst_sel:DWORD dst_unused:UNUSED_PAD src0_sel:WORD_1 src1_sel:DWORD
	v_fma_f16 v78, v50, s8, v61
	v_fma_f16 v61, v50, s8, -v61
	v_fma_f16 v60, v31, s8, -v58
	v_fma_f16 v58, v31, s8, v58
	v_add_f16_e32 v61, v61, v82
	v_mul_f16_e32 v82, 0xb836, v30
	v_add_f16_e32 v86, v90, v86
	v_add_f16_e32 v78, v78, v84
	v_add_f16_e32 v58, v58, v76
	v_mul_f16_sdwa v76, v30, s21 dst_sel:DWORD dst_unused:UNUSED_PAD src0_sel:WORD_1 src1_sel:DWORD
	v_fma_f16 v84, v50, s17, v82
	v_add_f16_e32 v60, v60, v81
	v_fma_f16 v81, v31, s17, -v76
	v_add_f16_e32 v84, v84, v86
	v_mul_f16_e32 v86, 0x3a62, v30
	v_add_f16_e32 v81, v81, v87
	v_fma_f16 v82, v50, s17, -v82
	v_fma_f16 v87, v50, s16, v86
	v_fma_f16 v50, v50, s16, -v86
	v_add_f16_e32 v45, v50, v45
	v_fma_f16 v50, v38, s14, v62
	v_add_f16_e32 v44, v50, v44
	v_fma_f16 v50, v51, s17, -v66
	v_add_f16_e32 v47, v50, v47
	v_mul_f16_sdwa v50, v33, s25 dst_sel:DWORD dst_unused:UNUSED_PAD src0_sel:WORD_1 src1_sel:DWORD
	v_fma_f16 v62, v38, s9, -v50
	v_add_f16_e32 v52, v62, v52
	v_mul_f16_e32 v62, 0x3964, v33
	v_fma_f16 v50, v38, s9, v50
	v_add_f16_e32 v48, v50, v48
	v_fma_f16 v50, v51, s9, -v62
	v_add_f16_e32 v49, v50, v49
	v_mul_f16_sdwa v50, v33, s20 dst_sel:DWORD dst_unused:UNUSED_PAD src0_sel:WORD_1 src1_sel:DWORD
	v_pk_add_f16 v46, v63, v46
	v_fma_f16 v63, v51, s9, v62
	v_fma_f16 v62, v38, s8, -v50
	v_add_f16_e32 v56, v62, v56
	v_mul_f16_e32 v62, 0xbb29, v33
	v_fma_f16 v50, v38, s8, v50
	v_add_f16_e32 v50, v50, v54
	v_fma_f16 v54, v51, s8, -v62
	v_add_f16_e32 v54, v54, v57
	v_mul_f16_sdwa v57, v33, s22 dst_sel:DWORD dst_unused:UNUSED_PAD src0_sel:WORD_1 src1_sel:DWORD
	v_add_f16_e32 v55, v63, v55
	v_fma_f16 v63, v51, s8, v62
	v_fma_f16 v62, v38, s18, -v57
	v_add_f16_e32 v60, v62, v60
	v_mul_f16_e32 v62, 0xb1e1, v33
	v_add_f16_e32 v85, v89, v85
	v_add_f16_e32 v59, v63, v59
	v_fma_f16 v63, v51, s18, v62
	v_mul_f16_e32 v66, 0x3bf7, v33
	v_add_f16_e32 v82, v82, v85
	v_add_f16_e32 v63, v63, v78
	v_fma_f16 v78, v51, s7, v66
	v_fma_f16 v66, v51, s7, -v66
	v_fma_f16 v57, v38, s18, v57
	v_add_f16_e32 v66, v66, v82
	v_mul_f16_e32 v82, 0xb5c8, v33
	v_add_f16_e32 v57, v57, v58
	v_fma_f16 v58, v51, s18, -v62
	v_add_f16_e32 v78, v78, v84
	v_fma_f16 v84, v51, s15, v82
	v_fma_f16 v51, v51, s15, -v82
	v_add_f16_e32 v45, v51, v45
	v_fma_f16 v51, v41, s16, v67
	v_add_f16_e32 v44, v51, v44
	v_fma_f16 v51, v70, s14, -v71
	v_add_f16_e32 v47, v51, v47
	v_mul_f16_sdwa v51, v40, s2 dst_sel:DWORD dst_unused:UNUSED_PAD src0_sel:WORD_1 src1_sel:DWORD
	v_fma_f16 v67, v41, s15, -v51
	v_add_f16_e32 v52, v67, v52
	v_mul_f16_e32 v67, 0xb5c8, v40
	v_fma_f16 v51, v41, s15, v51
	v_add_f16_e32 v48, v51, v48
	v_fma_f16 v51, v70, s15, -v67
	v_add_f16_e32 v49, v51, v49
	v_mul_f16_sdwa v51, v40, s21 dst_sel:DWORD dst_unused:UNUSED_PAD src0_sel:WORD_1 src1_sel:DWORD
	v_pk_add_f16 v46, v69, v46
	v_fma_f16 v69, v70, s15, v67
	v_fma_f16 v67, v41, s17, -v51
	v_add_f16_e32 v56, v67, v56
	v_mul_f16_e32 v67, 0xb836, v40
	v_fma_f16 v51, v41, s17, v51
	s_movk_i32 s20, 0x3bf7
	v_add_f16_e32 v50, v51, v50
	v_fma_f16 v51, v70, s17, -v67
	v_add_f16_e32 v51, v51, v54
	v_mul_f16_sdwa v54, v40, s20 dst_sel:DWORD dst_unused:UNUSED_PAD src0_sel:WORD_1 src1_sel:DWORD
	v_add_f16_e32 v55, v69, v55
	v_fma_f16 v69, v70, s17, v67
	v_fma_f16 v67, v41, s7, -v54
	v_add_f16_e32 v60, v67, v60
	v_mul_f16_e32 v67, 0x3bf7, v40
	v_fma_f16 v54, v41, s7, v54
	v_add_f16_e32 v58, v58, v61
	v_mul_f16_sdwa v61, v33, s20 dst_sel:DWORD dst_unused:UNUSED_PAD src0_sel:WORD_1 src1_sel:DWORD
	v_add_f16_e32 v54, v54, v57
	v_fma_f16 v57, v70, s7, -v67
	v_fma_f16 v62, v38, s7, -v61
	v_add_f16_e32 v57, v57, v58
	v_mul_f16_sdwa v58, v40, s19 dst_sel:DWORD dst_unused:UNUSED_PAD src0_sel:WORD_1 src1_sel:DWORD
	v_fma_f16 v76, v31, s17, v76
	v_add_f16_e32 v62, v62, v81
	v_add_f16_e32 v59, v69, v59
	v_fma_f16 v69, v70, s7, v67
	v_fma_f16 v67, v41, s9, -v58
	v_add_f16_e32 v76, v76, v83
	v_fma_f16 v61, v38, s7, v61
	v_add_f16_e32 v62, v67, v62
	v_mul_f16_e32 v67, 0xb964, v40
	v_add_f16_e32 v61, v61, v76
	v_add_f16_e32 v63, v69, v63
	v_fma_f16 v69, v70, s9, v67
	v_fma_f16 v58, v41, s9, v58
	v_mul_f16_e32 v71, 0xb1e1, v40
	v_add_f16_e32 v69, v69, v78
	v_add_f16_e32 v58, v58, v61
	v_fma_f16 v61, v70, s9, -v67
	v_fma_f16 v78, v70, s18, v71
	v_fma_f16 v70, v70, s18, -v71
	v_add_f16_e32 v45, v70, v45
	v_fma_f16 v70, v43, s17, v72
	v_add_f16_e32 v44, v70, v44
	v_fma_f16 v70, v74, s8, -v75
	v_add_f16_e32 v47, v70, v47
	v_mul_f16_sdwa v70, v0, s3 dst_sel:DWORD dst_unused:UNUSED_PAD src0_sel:WORD_1 src1_sel:DWORD
	v_fma_f16 v71, v43, s7, -v70
	v_add_f16_sdwa v25, v19, v25 dst_sel:DWORD dst_unused:UNUSED_PAD src0_sel:WORD_1 src1_sel:DWORD
	s_movk_i32 s27, 0x3a62
	v_add_f16_e32 v52, v71, v52
	v_mul_f16_e32 v71, 0xbbf7, v0
	v_fma_f16 v70, v43, s7, v70
	v_add_f16_e32 v25, v29, v25
	v_fma_f16 v72, v74, s7, v71
	v_add_f16_e32 v48, v70, v48
	v_mul_f16_sdwa v70, v0, s27 dst_sel:DWORD dst_unused:UNUSED_PAD src0_sel:WORD_1 src1_sel:DWORD
	v_add_f16_e32 v25, v32, v25
	v_add_f16_e32 v55, v72, v55
	v_fma_f16 v72, v43, s16, -v70
	v_add_f16_e32 v25, v39, v25
	v_mul_f16_sdwa v32, v1, s21 dst_sel:DWORD dst_unused:UNUSED_PAD src0_sel:WORD_1 src1_sel:DWORD
	v_add_f16_e32 v56, v72, v56
	v_mul_f16_e32 v72, 0x3a62, v0
	v_fma_f16 v70, v43, s16, v70
	v_add_f16_e32 v25, v42, v25
	v_fma_f16 v29, v65, s15, -v80
	v_fma_f16 v39, v3, s17, -v32
	v_mul_f16_e32 v42, 0xbacd, v65
	v_fma_f16 v32, v3, s17, v32
	v_add_f16_e32 v50, v70, v50
	v_fma_f16 v70, v74, s16, -v72
	v_add_f16_e32 v29, v29, v47
	v_fma_f16 v47, v1, s21, v42
	v_add_f16_e32 v32, v32, v48
	v_mul_f16_sdwa v48, v1, s25 dst_sel:DWORD dst_unused:UNUSED_PAD src0_sel:WORD_1 src1_sel:DWORD
	v_add_f16_e32 v51, v70, v51
	v_mul_f16_sdwa v70, v0, s2 dst_sel:DWORD dst_unused:UNUSED_PAD src0_sel:WORD_1 src1_sel:DWORD
	v_add_f16_e32 v39, v39, v52
	v_add_f16_e32 v47, v47, v55
	v_fma_f16 v52, v3, s9, -v48
	v_mul_f16_e32 v55, 0x3964, v1
	v_fma_f16 v48, v3, s9, v48
	v_fma_f16 v75, v74, s16, v72
	v_fma_f16 v72, v43, s15, -v70
	v_add_f16_e32 v48, v48, v50
	v_fma_f16 v50, v65, s9, -v55
	v_add_f16_e32 v59, v75, v59
	v_add_f16_e32 v60, v72, v60
	v_mul_f16_e32 v72, 0xb5c8, v0
	v_fma_f16 v70, v43, s15, v70
	v_add_f16_e32 v52, v52, v56
	v_fma_f16 v56, v65, s9, v55
	v_add_f16_e32 v50, v50, v51
	v_mul_f16_sdwa v51, v1, s1 dst_sel:DWORD dst_unused:UNUSED_PAD src0_sel:WORD_1 src1_sel:DWORD
	v_add_f16_e32 v54, v70, v54
	v_fma_f16 v70, v74, s15, -v72
	v_add_f16_e32 v56, v56, v59
	v_fma_f16 v55, v3, s16, -v51
	v_mul_f16_e32 v59, 0xba62, v1
	v_fma_f16 v51, v3, s16, v51
	v_mul_f16_sdwa v89, v27, s3 dst_sel:DWORD dst_unused:UNUSED_PAD src0_sel:WORD_1 src1_sel:DWORD
	v_add_f16_e32 v57, v70, v57
	v_mul_f16_sdwa v70, v0, s22 dst_sel:DWORD dst_unused:UNUSED_PAD src0_sel:WORD_1 src1_sel:DWORD
	v_add_f16_e32 v51, v51, v54
	v_fma_f16 v54, v65, s16, -v59
	v_fma_f16 v90, v28, s7, -v89
	v_mul_f16_sdwa v83, v30, s27 dst_sel:DWORD dst_unused:UNUSED_PAD src0_sel:WORD_1 src1_sel:DWORD
	v_fma_f16 v75, v74, s15, v72
	v_fma_f16 v72, v43, s18, -v70
	v_add_f16_e32 v54, v54, v57
	v_mul_f16_sdwa v57, v1, s24 dst_sel:DWORD dst_unused:UNUSED_PAD src0_sel:WORD_1 src1_sel:DWORD
	v_add_f16_sdwa v88, v19, v88 dst_sel:DWORD dst_unused:UNUSED_PAD src0_sel:WORD_1 src1_sel:DWORD
	v_add_f16_e32 v90, v90, v94
	v_fma_f16 v85, v31, s16, -v83
	v_mul_f16_sdwa v76, v33, s2 dst_sel:DWORD dst_unused:UNUSED_PAD src0_sel:WORD_1 src1_sel:DWORD
	v_add_f16_e32 v62, v72, v62
	v_mul_f16_e32 v72, 0xb1e1, v0
	v_fma_f16 v70, v43, s18, v70
	v_add_f16_e32 v55, v55, v60
	v_fma_f16 v60, v65, s16, v59
	v_fma_f16 v59, v3, s8, -v57
	v_add_f16_e32 v88, v97, v88
	v_add_f16_e32 v85, v85, v90
	v_fma_f16 v81, v38, s15, -v76
	v_add_f16_e32 v61, v61, v66
	v_mul_f16_sdwa v66, v40, s22 dst_sel:DWORD dst_unused:UNUSED_PAD src0_sel:WORD_1 src1_sel:DWORD
	v_add_f16_e32 v58, v70, v58
	v_fma_f16 v70, v74, s18, -v72
	v_add_f16_e32 v59, v59, v62
	v_mul_f16_e32 v62, 0x3b29, v1
	v_fma_f16 v57, v3, s8, v57
	v_add_f16_e32 v88, v92, v88
	v_add_f16_e32 v81, v81, v85
	v_fma_f16 v67, v41, s18, -v66
	v_add_f16_e32 v61, v70, v61
	v_mul_f16_sdwa v70, v0, s25 dst_sel:DWORD dst_unused:UNUSED_PAD src0_sel:WORD_1 src1_sel:DWORD
	v_add_f16_e32 v57, v57, v58
	v_fma_f16 v58, v65, s8, -v62
	v_add_f16_e32 v87, v87, v88
	v_add_f16_e32 v67, v67, v81
	;; [unrolled: 1-line block ×3, first 2 shown]
	v_fma_f16 v75, v74, s18, v72
	v_fma_f16 v72, v43, s9, -v70
	v_add_f16_e32 v58, v58, v61
	v_mul_f16_sdwa v61, v1, s0 dst_sel:DWORD dst_unused:UNUSED_PAD src0_sel:WORD_1 src1_sel:DWORD
	v_add_f16_e32 v84, v84, v87
	v_add_f16_e32 v67, v72, v67
	v_mul_f16_e32 v72, 0x3964, v0
	v_add_f16_e32 v60, v60, v63
	v_fma_f16 v63, v65, s8, v62
	v_fma_f16 v62, v3, s14, -v61
	v_add_f16_e32 v78, v78, v84
	v_add_f16_e32 v69, v75, v69
	v_fma_f16 v75, v74, s9, v72
	v_add_f16_e32 v62, v62, v67
	v_mul_f16_e32 v67, 0xbbb2, v1
	v_add_f16_e32 v75, v75, v78
	v_add_f16_e32 v25, v68, v25
	;; [unrolled: 1-line block ×3, first 2 shown]
	v_fma_f16 v68, v65, s14, v67
	v_pack_b32_f16 v52, v52, v56
	v_pack_b32_f16 v39, v39, v47
	v_add_f16_e32 v68, v68, v75
	ds_write2_b32 v64, v39, v52 offset0:3 offset1:4
	v_pack_b32_f16 v39, v59, v63
	v_pack_b32_f16 v47, v55, v60
	ds_write2_b32 v64, v47, v39 offset0:5 offset1:6
	v_pack_b32_f16 v39, v62, v68
	ds_write2_b32 v64, v21, v39 offset1:7
	v_pk_mul_f16 v21, v22, s18 op_sel_hi:[1,0]
	v_fma_f16 v93, v22, s17, v93
	v_pk_fma_f16 v22, v20, s22, v21 op_sel:[0,0,1] op_sel_hi:[1,0,0] neg_lo:[1,0,0] neg_hi:[1,0,0]
	v_pk_fma_f16 v20, v20, s22, v21 op_sel:[0,0,1] op_sel_hi:[1,0,0]
	v_add_f16_e32 v93, v19, v93
	v_pk_add_f16 v22, v19, v22 op_sel:[1,0] op_sel_hi:[0,1]
	v_pk_add_f16 v19, v19, v20 op_sel:[1,0] op_sel_hi:[0,1]
	v_pk_mul_f16 v20, v26, s15 op_sel_hi:[1,0]
	v_pk_fma_f16 v21, v23, s26, v20 op_sel:[0,0,1] op_sel_hi:[1,0,0] neg_lo:[1,0,0] neg_hi:[1,0,0]
	v_pk_fma_f16 v20, v23, s26, v20 op_sel:[0,0,1] op_sel_hi:[1,0,0]
	v_pk_add_f16 v19, v20, v19
	v_pk_mul_f16 v20, v28, s17 op_sel_hi:[1,0]
	v_pk_add_f16 v21, v21, v22
	v_pk_fma_f16 v22, v27, s21, v20 op_sel:[0,0,1] op_sel_hi:[1,0,0] neg_lo:[1,0,0] neg_hi:[1,0,0]
	v_pk_fma_f16 v20, v27, s21, v20 op_sel:[0,0,1] op_sel_hi:[1,0,0]
	v_fma_f16 v95, v26, s8, v95
	v_pk_add_f16 v19, v20, v19
	v_pk_mul_f16 v20, v31, s9 op_sel_hi:[1,0]
	v_add_f16_e32 v93, v95, v93
	v_fma_f16 v89, v28, s7, v89
	v_pk_add_f16 v21, v22, v21
	v_pk_fma_f16 v22, v30, s25, v20 op_sel:[0,0,1] op_sel_hi:[1,0,0] neg_lo:[1,0,0] neg_hi:[1,0,0]
	v_pk_fma_f16 v20, v30, s25, v20 op_sel:[0,0,1] op_sel_hi:[1,0,0]
	v_add_f16_e32 v89, v89, v93
	v_fma_f16 v83, v31, s16, v83
	v_pk_add_f16 v19, v20, v19
	v_pk_mul_f16 v20, v38, s16 op_sel_hi:[1,0]
	v_add_f16_e32 v83, v83, v89
	v_fma_f16 v76, v38, s15, v76
	v_pk_add_f16 v21, v22, v21
	v_pk_fma_f16 v22, v33, s1, v20 op_sel:[0,0,1] op_sel_hi:[1,0,0] neg_lo:[1,0,0] neg_hi:[1,0,0]
	v_pk_fma_f16 v20, v33, s1, v20 op_sel:[0,0,1] op_sel_hi:[1,0,0]
	v_add_f16_e32 v76, v76, v83
	;; [unrolled: 9-line block ×3, first 2 shown]
	v_fma_f16 v70, v74, s7, -v71
	v_fma_f16 v71, v74, s9, -v72
	v_pk_add_f16 v19, v20, v19
	v_pk_mul_f16 v20, v43, s14 op_sel_hi:[1,0]
	v_add_f16_e32 v45, v71, v45
	v_fma_f16 v71, v3, s18, v77
	v_fma_f16 v61, v3, s14, v61
	v_fma_f16 v65, v65, s14, -v67
	v_pk_add_f16 v21, v22, v21
	v_pk_fma_f16 v22, v0, s0, v20 op_sel:[0,0,1] op_sel_hi:[1,0,0] neg_lo:[1,0,0] neg_hi:[1,0,0]
	v_pk_fma_f16 v0, v0, s0, v20 op_sel:[0,0,1] op_sel_hi:[1,0,0]
	v_pk_mul_f16 v3, v3, s7 op_sel_hi:[1,0]
	v_add_f16_e32 v45, v65, v45
	v_pk_mul_f16 v65, v1, s23
	v_mul_f16_e32 v56, 0xb836, v1
	v_pk_add_f16 v21, v22, v21
	v_pk_add_f16 v0, v0, v19
	v_pk_fma_f16 v19, v1, s20, v3 op_sel:[0,0,1] op_sel_hi:[1,0,0] neg_lo:[1,0,0] neg_hi:[1,0,0]
	v_pk_fma_f16 v1, v1, s20, v3 op_sel:[0,0,1] op_sel_hi:[1,0,0]
	v_pk_add_f16 v19, v19, v21
	v_pk_add_f16 v0, v1, v0
	v_add_f16_e32 v61, v61, v66
	v_alignbit_b32 v1, v19, v0, 16
	v_alignbit_b32 v0, v0, v19, 16
	ds_write2_b32 v64, v0, v1 offset0:8 offset1:9
	v_pack_b32_f16 v0, v57, v58
	v_pack_b32_f16 v1, v61, v45
	ds_write2_b32 v64, v1, v0 offset0:10 offset1:11
	v_pack_b32_f16 v0, v48, v50
	v_pack_b32_f16 v1, v51, v54
	ds_write2_b32 v64, v1, v0 offset0:12 offset1:13
	v_pack_b32_f16 v0, v70, v53
	v_bfi_b32 v1, s6, v49, v65
	v_pk_add_f16 v0, v0, v1
	v_bfi_b32 v1, s6, v56, v46
	v_pk_add_f16 v1, v42, v1 neg_lo:[0,1] neg_hi:[0,1]
	v_pk_add_f16 v2, v2, v46
	v_bfi_b32 v1, s6, v1, v2
	v_add_f16_e32 v25, v73, v25
	v_pk_add_f16 v0, v1, v0
	v_add_f16_e32 v44, v71, v44
	v_add_f16_e32 v25, v79, v25
	v_alignbit_b32 v1, v29, v0, 16
	v_pack_b32_f16 v0, v32, v0
	v_subrev_u32_e32 v19, 17, v6
	v_cmp_gt_u32_e64 s[0:1], 17, v6
	ds_write2_b32 v64, v0, v1 offset0:14 offset1:15
	v_pack_b32_f16 v0, v44, v25
	v_cndmask_b32_e64 v25, v19, v6, s[0:1]
	v_lshlrev_b32_e32 v20, 4, v25
	v_mov_b32_e32 v21, 0
	ds_write_b32 v64, v0 offset:64
	v_lshlrev_b64 v[0:1], 2, v[20:21]
	v_mov_b32_e32 v2, s13
	v_add_co_u32_e64 v22, s[2:3], s12, v0
	v_addc_co_u32_e64 v23, s[2:3], v2, v1, s[2:3]
	s_waitcnt lgkmcnt(0)
	s_barrier
	global_load_dwordx4 v[0:3], v[22:23], off
	global_load_dwordx4 v[29:32], v[22:23], off offset:16
	global_load_dwordx4 v[46:49], v[22:23], off offset:32
	;; [unrolled: 1-line block ×3, first 2 shown]
	v_lshl_add_u32 v45, v17, 2, v34
	v_lshl_add_u32 v41, v15, 2, v34
	;; [unrolled: 1-line block ×8, first 2 shown]
	ds_read_b32 v20, v41
	ds_read_b32 v22, v43
	;; [unrolled: 1-line block ×8, first 2 shown]
	s_waitcnt lgkmcnt(7)
	v_lshrrev_b32_e32 v55, 16, v20
	ds_read2_b32 v[27:28], v7 offset0:50 offset1:84
	ds_read_b32 v63, v35
	s_waitcnt lgkmcnt(8)
	v_lshrrev_b32_e32 v57, 16, v22
	s_waitcnt lgkmcnt(7)
	v_lshrrev_b32_e32 v58, 16, v23
	;; [unrolled: 2-line block ×3, first 2 shown]
	v_lshrrev_b32_e32 v59, 16, v26
	v_lshrrev_b32_e32 v61, 16, v33
	s_waitcnt lgkmcnt(1)
	v_lshrrev_b32_e32 v68, 16, v28
	v_lshrrev_b32_e32 v62, 16, v56
	v_cmp_lt_u32_e64 s[2:3], 16, v6
	v_lshlrev_b32_e32 v25, 2, v25
	s_waitcnt vmcnt(3)
	v_mul_f16_sdwa v65, v0, v64 dst_sel:DWORD dst_unused:UNUSED_PAD src0_sel:WORD_1 src1_sel:DWORD
	v_fma_f16 v65, v0, v60, -v65
	v_mul_f16_sdwa v60, v0, v60 dst_sel:DWORD dst_unused:UNUSED_PAD src0_sel:WORD_1 src1_sel:DWORD
	v_fma_f16 v60, v0, v64, v60
	v_lshrrev_b32_e32 v0, 16, v54
	v_mul_f16_sdwa v64, v1, v0 dst_sel:DWORD dst_unused:UNUSED_PAD src0_sel:WORD_1 src1_sel:DWORD
	v_fma_f16 v64, v1, v54, -v64
	v_mul_f16_sdwa v54, v1, v54 dst_sel:DWORD dst_unused:UNUSED_PAD src0_sel:WORD_1 src1_sel:DWORD
	v_fma_f16 v54, v1, v0, v54
	v_mul_f16_sdwa v0, v55, v2 dst_sel:DWORD dst_unused:UNUSED_PAD src0_sel:DWORD src1_sel:WORD_1
	v_fma_f16 v66, v20, v2, -v0
	v_mul_f16_sdwa v0, v20, v2 dst_sel:DWORD dst_unused:UNUSED_PAD src0_sel:DWORD src1_sel:WORD_1
	v_fma_f16 v55, v55, v2, v0
	v_mul_f16_sdwa v0, v57, v3 dst_sel:DWORD dst_unused:UNUSED_PAD src0_sel:DWORD src1_sel:WORD_1
	s_waitcnt vmcnt(2)
	v_mul_f16_sdwa v2, v58, v29 dst_sel:DWORD dst_unused:UNUSED_PAD src0_sel:DWORD src1_sel:WORD_1
	v_fma_f16 v67, v22, v3, -v0
	v_mul_f16_sdwa v0, v22, v3 dst_sel:DWORD dst_unused:UNUSED_PAD src0_sel:DWORD src1_sel:WORD_1
	v_fma_f16 v69, v23, v29, -v2
	v_mul_f16_sdwa v2, v23, v29 dst_sel:DWORD dst_unused:UNUSED_PAD src0_sel:DWORD src1_sel:WORD_1
	v_fma_f16 v57, v57, v3, v0
	v_lshrrev_b32_e32 v22, 16, v27
	ds_read2_b32 v[0:1], v7 offset0:118 offset1:152
	v_fma_f16 v58, v58, v29, v2
	v_mul_f16_sdwa v2, v59, v30 dst_sel:DWORD dst_unused:UNUSED_PAD src0_sel:DWORD src1_sel:WORD_1
	v_fma_f16 v29, v26, v30, -v2
	v_mul_f16_sdwa v2, v26, v30 dst_sel:DWORD dst_unused:UNUSED_PAD src0_sel:DWORD src1_sel:WORD_1
	s_waitcnt vmcnt(1)
	v_mul_f16_sdwa v20, v22, v46 dst_sel:DWORD dst_unused:UNUSED_PAD src0_sel:DWORD src1_sel:WORD_1
	v_fma_f16 v30, v59, v30, v2
	v_mul_f16_sdwa v2, v61, v31 dst_sel:DWORD dst_unused:UNUSED_PAD src0_sel:DWORD src1_sel:WORD_1
	v_fma_f16 v20, v27, v46, -v20
	v_mul_f16_sdwa v27, v27, v46 dst_sel:DWORD dst_unused:UNUSED_PAD src0_sel:DWORD src1_sel:WORD_1
	v_fma_f16 v23, v33, v31, -v2
	v_mul_f16_sdwa v2, v33, v31 dst_sel:DWORD dst_unused:UNUSED_PAD src0_sel:DWORD src1_sel:WORD_1
	v_fma_f16 v22, v22, v46, v27
	v_mul_f16_sdwa v27, v68, v47 dst_sel:DWORD dst_unused:UNUSED_PAD src0_sel:DWORD src1_sel:WORD_1
	v_fma_f16 v26, v61, v31, v2
	v_mul_f16_sdwa v2, v62, v32 dst_sel:DWORD dst_unused:UNUSED_PAD src0_sel:DWORD src1_sel:WORD_1
	v_mul_f16_sdwa v3, v56, v32 dst_sel:DWORD dst_unused:UNUSED_PAD src0_sel:DWORD src1_sel:WORD_1
	v_fma_f16 v27, v28, v47, -v27
	v_mul_f16_sdwa v28, v28, v47 dst_sel:DWORD dst_unused:UNUSED_PAD src0_sel:DWORD src1_sel:WORD_1
	v_fma_f16 v2, v56, v32, -v2
	v_fma_f16 v3, v62, v32, v3
	s_waitcnt lgkmcnt(0)
	v_lshrrev_b32_e32 v32, 16, v0
	v_fma_f16 v28, v68, v47, v28
	ds_read2_b32 v[46:47], v7 offset0:186 offset1:220
	v_mul_f16_sdwa v31, v32, v48 dst_sel:DWORD dst_unused:UNUSED_PAD src0_sel:DWORD src1_sel:WORD_1
	v_lshrrev_b32_e32 v33, 16, v1
	v_fma_f16 v31, v0, v48, -v31
	v_mul_f16_sdwa v0, v0, v48 dst_sel:DWORD dst_unused:UNUSED_PAD src0_sel:DWORD src1_sel:WORD_1
	v_fma_f16 v32, v32, v48, v0
	v_mul_f16_sdwa v0, v33, v49 dst_sel:DWORD dst_unused:UNUSED_PAD src0_sel:DWORD src1_sel:WORD_1
	v_fma_f16 v48, v1, v49, -v0
	v_mul_f16_sdwa v0, v1, v49 dst_sel:DWORD dst_unused:UNUSED_PAD src0_sel:DWORD src1_sel:WORD_1
	v_fma_f16 v33, v33, v49, v0
	s_waitcnt lgkmcnt(0)
	v_lshrrev_b32_e32 v0, 16, v46
	s_waitcnt vmcnt(0)
	v_mul_f16_sdwa v1, v0, v50 dst_sel:DWORD dst_unused:UNUSED_PAD src0_sel:DWORD src1_sel:WORD_1
	v_fma_f16 v56, v46, v50, -v1
	v_mul_f16_sdwa v1, v46, v50 dst_sel:DWORD dst_unused:UNUSED_PAD src0_sel:DWORD src1_sel:WORD_1
	v_fma_f16 v46, v0, v50, v1
	ds_read2_b32 v[0:1], v18 offset0:126 offset1:160
	v_lshrrev_b32_e32 v49, 16, v47
	v_mul_f16_sdwa v50, v49, v51 dst_sel:DWORD dst_unused:UNUSED_PAD src0_sel:DWORD src1_sel:WORD_1
	v_fma_f16 v50, v47, v51, -v50
	v_mul_f16_sdwa v47, v47, v51 dst_sel:DWORD dst_unused:UNUSED_PAD src0_sel:DWORD src1_sel:WORD_1
	v_fma_f16 v47, v49, v51, v47
	s_waitcnt lgkmcnt(0)
	v_lshrrev_b32_e32 v49, 16, v0
	v_mul_f16_sdwa v51, v0, v52 dst_sel:DWORD dst_unused:UNUSED_PAD src0_sel:DWORD src1_sel:WORD_1
	v_fma_f16 v51, v49, v52, v51
	v_mul_f16_sdwa v49, v49, v52 dst_sel:DWORD dst_unused:UNUSED_PAD src0_sel:DWORD src1_sel:WORD_1
	v_fma_f16 v49, v0, v52, -v49
	v_lshrrev_b32_e32 v0, 16, v1
	v_mul_f16_sdwa v52, v0, v53 dst_sel:DWORD dst_unused:UNUSED_PAD src0_sel:DWORD src1_sel:WORD_1
	v_fma_f16 v52, v1, v53, -v52
	v_mul_f16_sdwa v1, v1, v53 dst_sel:DWORD dst_unused:UNUSED_PAD src0_sel:DWORD src1_sel:WORD_1
	v_fma_f16 v53, v0, v53, v1
	v_add_f16_sdwa v1, v60, v63 dst_sel:DWORD dst_unused:UNUSED_PAD src0_sel:DWORD src1_sel:WORD_1
	v_add_f16_e32 v0, v65, v63
	v_add_f16_e32 v1, v1, v54
	;; [unrolled: 1-line block ×31, first 2 shown]
	v_sub_f16_e32 v53, v60, v53
	v_add_f16_e32 v0, v0, v52
	v_add_f16_e32 v59, v65, v52
	v_sub_f16_e32 v52, v65, v52
	v_mul_f16_e32 v60, 0xb5c8, v53
	v_mul_f16_e32 v65, 0xb964, v53
	;; [unrolled: 1-line block ×8, first 2 shown]
	v_fma_f16 v62, v59, s15, -v60
	v_fma_f16 v60, v59, s15, v60
	v_fma_f16 v68, v59, s9, -v65
	v_fma_f16 v65, v59, s9, v65
	;; [unrolled: 2-line block ×8, first 2 shown]
	v_mul_f16_e32 v59, 0xb5c8, v52
	v_mul_f16_e32 v82, 0xb964, v52
	;; [unrolled: 1-line block ×8, first 2 shown]
	v_fma_f16 v81, v61, s15, v59
	v_fma_f16 v59, v61, s15, -v59
	v_fma_f16 v83, v61, s9, v82
	v_fma_f16 v82, v61, s9, -v82
	;; [unrolled: 2-line block ×8, first 2 shown]
	v_add_f16_e32 v61, v62, v63
	v_add_f16_sdwa v62, v81, v63 dst_sel:DWORD dst_unused:UNUSED_PAD src0_sel:DWORD src1_sel:WORD_1
	v_add_f16_e32 v60, v60, v63
	v_add_f16_sdwa v59, v59, v63 dst_sel:DWORD dst_unused:UNUSED_PAD src0_sel:DWORD src1_sel:WORD_1
	;; [unrolled: 2-line block ×16, first 2 shown]
	v_add_f16_e32 v63, v64, v49
	v_sub_f16_e32 v49, v64, v49
	v_add_f16_e32 v64, v54, v51
	v_sub_f16_e32 v51, v54, v51
	v_mul_f16_e32 v54, 0xb964, v51
	v_fma_f16 v94, v63, s9, -v54
	v_add_f16_e32 v61, v94, v61
	v_mul_f16_e32 v94, 0xb964, v49
	v_fma_f16 v54, v63, s9, v54
	v_add_f16_e32 v54, v54, v60
	v_fma_f16 v60, v64, s9, -v94
	v_add_f16_e32 v59, v60, v59
	v_mul_f16_e32 v60, 0xbbf7, v51
	v_fma_f16 v95, v64, s9, v94
	v_fma_f16 v94, v63, s7, -v60
	v_add_f16_e32 v68, v94, v68
	v_mul_f16_e32 v94, 0xbbf7, v49
	v_fma_f16 v60, v63, s7, v60
	v_add_f16_e32 v60, v60, v65
	v_fma_f16 v65, v64, s7, -v94
	v_add_f16_e32 v65, v65, v82
	v_mul_f16_e32 v82, 0xba62, v51
	v_add_f16_e32 v62, v95, v62
	v_fma_f16 v95, v64, s7, v94
	v_fma_f16 v94, v63, s16, -v82
	v_add_f16_e32 v71, v94, v71
	v_mul_f16_e32 v94, 0xba62, v49
	v_fma_f16 v82, v63, s16, v82
	v_add_f16_e32 v70, v82, v70
	v_fma_f16 v82, v64, s16, -v94
	v_add_f16_e32 v82, v82, v84
	v_mul_f16_e32 v84, 0xb1e1, v51
	v_add_f16_e32 v81, v95, v81
	;; [unrolled: 10-line block ×5, first 2 shown]
	v_fma_f16 v95, v64, s14, v94
	v_fma_f16 v94, v63, s8, -v90
	v_add_f16_e32 v79, v94, v79
	v_mul_f16_e32 v94, 0x3b29, v49
	v_fma_f16 v90, v63, s8, v90
	v_add_f16_e32 v78, v90, v78
	v_fma_f16 v90, v64, s8, -v94
	v_mul_f16_e32 v51, 0x35c8, v51
	v_add_f16_e32 v90, v90, v92
	v_fma_f16 v92, v63, s15, -v51
	v_mul_f16_e32 v49, 0x35c8, v49
	v_fma_f16 v51, v63, s15, v51
	v_add_f16_e32 v80, v92, v80
	v_fma_f16 v92, v64, s15, v49
	v_add_f16_e32 v51, v51, v53
	v_fma_f16 v49, v64, s15, -v49
	v_add_f16_e32 v53, v55, v47
	v_sub_f16_e32 v47, v55, v47
	v_add_f16_e32 v49, v49, v52
	v_add_f16_e32 v52, v66, v50
	v_mul_f16_e32 v55, 0xbb29, v47
	v_sub_f16_e32 v50, v66, v50
	v_fma_f16 v63, v52, s8, -v55
	v_add_f16_e32 v61, v63, v61
	v_mul_f16_e32 v63, 0xbb29, v50
	v_fma_f16 v55, v52, s8, v55
	v_add_f16_e32 v54, v55, v54
	v_fma_f16 v55, v53, s8, -v63
	v_add_f16_e32 v89, v95, v89
	v_fma_f16 v95, v64, s8, v94
	v_fma_f16 v64, v53, s8, v63
	v_add_f16_e32 v55, v55, v59
	v_mul_f16_e32 v59, 0xba62, v47
	v_add_f16_e32 v62, v64, v62
	v_fma_f16 v63, v52, s16, -v59
	v_mul_f16_e32 v64, 0xba62, v50
	v_fma_f16 v59, v52, s16, v59
	v_fma_f16 v66, v53, s16, v64
	v_add_f16_e32 v59, v59, v60
	v_fma_f16 v60, v53, s16, -v64
	v_mul_f16_e32 v64, 0x31e1, v47
	v_add_f16_e32 v60, v60, v65
	v_fma_f16 v65, v52, s18, -v64
	v_fma_f16 v64, v52, s18, v64
	v_add_f16_e32 v64, v64, v70
	v_mul_f16_e32 v70, 0x3bb2, v47
	v_add_f16_e32 v63, v63, v68
	v_add_f16_e32 v66, v66, v81
	v_mul_f16_e32 v68, 0x31e1, v50
	v_fma_f16 v81, v52, s14, -v70
	v_add_f16_e32 v65, v65, v71
	v_fma_f16 v71, v53, s18, v68
	v_fma_f16 v68, v53, s18, -v68
	v_add_f16_e32 v73, v81, v73
	v_mul_f16_e32 v81, 0x3bb2, v50
	v_fma_f16 v70, v52, s14, v70
	v_add_f16_e32 v68, v68, v82
	v_fma_f16 v82, v53, s14, v81
	v_add_f16_e32 v70, v70, v72
	v_fma_f16 v72, v53, s14, -v81
	v_mul_f16_e32 v81, 0x3964, v47
	v_add_f16_e32 v71, v71, v83
	v_fma_f16 v83, v52, s9, -v81
	v_add_f16_e32 v75, v83, v75
	v_mul_f16_e32 v83, 0x3964, v50
	v_fma_f16 v81, v52, s9, v81
	v_add_f16_e32 v72, v72, v84
	v_fma_f16 v84, v53, s9, v83
	v_add_f16_e32 v74, v81, v74
	v_fma_f16 v81, v53, s9, -v83
	v_mul_f16_e32 v83, 0xb5c8, v47
	v_add_f16_e32 v82, v82, v85
	;; [unrolled: 10-line block ×3, first 2 shown]
	v_fma_f16 v87, v52, s7, -v85
	v_add_f16_e32 v79, v87, v79
	v_mul_f16_e32 v87, 0xbbf7, v50
	v_fma_f16 v85, v52, s7, v85
	v_mul_f16_e32 v47, 0xb836, v47
	v_add_f16_e32 v83, v83, v88
	v_fma_f16 v88, v53, s7, v87
	v_add_f16_e32 v78, v85, v78
	v_fma_f16 v85, v53, s7, -v87
	v_fma_f16 v87, v52, s17, -v47
	v_mul_f16_e32 v50, 0xb836, v50
	v_add_f16_e32 v80, v87, v80
	v_fma_f16 v87, v53, s17, v50
	v_fma_f16 v47, v52, s17, v47
	v_fma_f16 v50, v53, s17, -v50
	v_add_f16_e32 v52, v57, v46
	v_sub_f16_e32 v46, v57, v46
	v_add_f16_e32 v47, v47, v51
	v_add_f16_e32 v49, v50, v49
	;; [unrolled: 1-line block ×3, first 2 shown]
	v_sub_f16_e32 v51, v67, v56
	v_mul_f16_e32 v53, 0xbbf7, v46
	v_fma_f16 v56, v50, s7, -v53
	v_mul_f16_e32 v57, 0xbbf7, v51
	v_fma_f16 v53, v50, s7, v53
	v_add_f16_e32 v53, v53, v54
	v_fma_f16 v54, v52, s7, -v57
	v_add_f16_e32 v56, v56, v61
	v_fma_f16 v61, v52, s7, v57
	v_add_f16_e32 v54, v54, v55
	v_mul_f16_e32 v55, 0xb1e1, v46
	v_add_f16_e32 v61, v61, v62
	v_fma_f16 v57, v50, s18, -v55
	v_mul_f16_e32 v62, 0xb1e1, v51
	v_fma_f16 v55, v50, s18, v55
	v_add_f16_e32 v55, v55, v59
	v_fma_f16 v59, v52, s18, -v62
	v_add_f16_e32 v59, v59, v60
	v_mul_f16_e32 v60, 0x3bb2, v46
	v_add_f16_e32 v57, v57, v63
	v_fma_f16 v63, v52, s18, v62
	v_fma_f16 v62, v50, s14, -v60
	v_add_f16_e32 v62, v62, v65
	v_mul_f16_e32 v65, 0x3bb2, v51
	v_fma_f16 v60, v50, s14, v60
	v_add_f16_e32 v63, v63, v66
	v_fma_f16 v66, v52, s14, v65
	v_add_f16_e32 v60, v60, v64
	v_fma_f16 v64, v52, s14, -v65
	v_mul_f16_e32 v65, 0x35c8, v46
	v_add_f16_e32 v64, v64, v68
	v_fma_f16 v67, v50, s15, -v65
	v_mul_f16_e32 v68, 0x35c8, v51
	v_fma_f16 v65, v50, s15, v65
	v_add_f16_e32 v66, v66, v71
	v_fma_f16 v71, v52, s15, v68
	v_add_f16_e32 v65, v65, v70
	v_fma_f16 v68, v52, s15, -v68
	v_mul_f16_e32 v70, 0xbb29, v46
	v_add_f16_e32 v67, v67, v73
	v_add_f16_e32 v68, v68, v72
	v_fma_f16 v72, v50, s8, -v70
	v_mul_f16_e32 v73, 0xbb29, v51
	v_fma_f16 v70, v50, s8, v70
	v_add_f16_e32 v72, v72, v75
	v_fma_f16 v75, v52, s8, v73
	v_add_f16_e32 v70, v70, v74
	v_fma_f16 v73, v52, s8, -v73
	v_mul_f16_e32 v74, 0xb836, v46
	v_add_f16_e32 v73, v73, v81
	v_fma_f16 v81, v50, s17, -v74
	v_add_f16_e32 v77, v81, v77
	v_mul_f16_e32 v81, 0xb836, v51
	v_fma_f16 v74, v50, s17, v74
	v_add_f16_e32 v71, v71, v82
	v_fma_f16 v82, v52, s17, v81
	v_add_f16_e32 v74, v74, v76
	v_fma_f16 v76, v52, s17, -v81
	v_mul_f16_e32 v81, 0x3a62, v46
	v_add_f16_e32 v76, v76, v83
	v_fma_f16 v83, v50, s16, -v81
	v_add_f16_e32 v79, v83, v79
	v_mul_f16_e32 v83, 0x3a62, v51
	v_fma_f16 v81, v50, s16, v81
	v_mul_f16_e32 v46, 0x3964, v46
	v_add_f16_e32 v75, v75, v84
	v_fma_f16 v84, v52, s16, v83
	v_add_f16_e32 v78, v81, v78
	v_fma_f16 v81, v52, s16, -v83
	v_fma_f16 v83, v50, s9, -v46
	v_mul_f16_e32 v51, 0x3964, v51
	v_fma_f16 v46, v50, s9, v46
	v_add_f16_e32 v46, v46, v47
	v_fma_f16 v47, v52, s9, -v51
	v_add_f16_e32 v50, v58, v33
	v_sub_f16_e32 v33, v58, v33
	v_add_f16_e32 v80, v83, v80
	v_fma_f16 v83, v52, s9, v51
	v_add_f16_e32 v47, v47, v49
	v_add_f16_e32 v49, v69, v48
	v_mul_f16_e32 v51, 0xbbb2, v33
	v_sub_f16_e32 v48, v69, v48
	v_fma_f16 v52, v49, s14, -v51
	v_add_f16_e32 v52, v52, v56
	v_mul_f16_e32 v56, 0xbbb2, v48
	v_fma_f16 v51, v49, s14, v51
	v_add_f16_e32 v51, v51, v53
	v_fma_f16 v53, v50, s14, -v56
	v_add_f16_e32 v53, v53, v54
	v_mul_f16_e32 v54, 0x3836, v33
	v_fma_f16 v58, v50, s14, v56
	v_fma_f16 v56, v49, s17, -v54
	v_add_f16_e32 v56, v56, v57
	v_mul_f16_e32 v57, 0x3836, v48
	v_fma_f16 v54, v49, s17, v54
	v_add_f16_e32 v58, v58, v61
	v_fma_f16 v61, v50, s17, v57
	v_add_f16_e32 v54, v54, v55
	v_fma_f16 v55, v50, s17, -v57
	v_mul_f16_e32 v57, 0x3964, v33
	v_add_f16_e32 v55, v55, v59
	v_fma_f16 v59, v49, s9, -v57
	v_add_f16_e32 v59, v59, v62
	v_mul_f16_e32 v62, 0x3964, v48
	v_fma_f16 v57, v49, s9, v57
	v_add_f16_e32 v61, v61, v63
	v_fma_f16 v63, v50, s9, v62
	v_add_f16_e32 v57, v57, v60
	v_fma_f16 v60, v50, s9, -v62
	v_mul_f16_e32 v62, 0xbb29, v33
	v_add_f16_e32 v63, v63, v66
	v_add_f16_e32 v60, v60, v64
	v_fma_f16 v64, v49, s8, -v62
	v_mul_f16_e32 v66, 0xbb29, v48
	v_fma_f16 v62, v49, s8, v62
	v_add_f16_e32 v64, v64, v67
	v_fma_f16 v67, v50, s8, v66
	v_add_f16_e32 v62, v62, v65
	v_fma_f16 v65, v50, s8, -v66
	v_mul_f16_e32 v66, 0xb1e1, v33
	v_add_f16_e32 v65, v65, v68
	v_fma_f16 v68, v49, s18, -v66
	v_mul_f16_e32 v69, 0xb1e1, v48
	v_fma_f16 v66, v49, s18, v66
	v_add_f16_e32 v67, v67, v71
	v_fma_f16 v71, v50, s18, v69
	v_add_f16_e32 v66, v66, v70
	v_fma_f16 v69, v50, s18, -v69
	v_mul_f16_e32 v70, 0x3bf7, v33
	v_add_f16_e32 v68, v68, v72
	v_add_f16_e32 v69, v69, v73
	v_fma_f16 v72, v49, s7, -v70
	v_mul_f16_e32 v73, 0x3bf7, v48
	v_fma_f16 v70, v49, s7, v70
	v_add_f16_e32 v71, v71, v75
	v_fma_f16 v75, v50, s7, v73
	v_add_f16_e32 v70, v70, v74
	v_fma_f16 v73, v50, s7, -v73
	v_mul_f16_e32 v74, 0xb5c8, v33
	v_add_f16_e32 v73, v73, v76
	v_fma_f16 v76, v49, s15, -v74
	v_fma_f16 v74, v49, s15, v74
	v_mul_f16_e32 v33, 0xba62, v33
	v_add_f16_e32 v72, v72, v77
	v_mul_f16_e32 v77, 0xb5c8, v48
	v_add_f16_e32 v74, v74, v78
	v_fma_f16 v78, v49, s16, -v33
	v_mul_f16_e32 v48, 0xba62, v48
	v_fma_f16 v33, v49, s16, v33
	v_add_f16_e32 v33, v33, v46
	v_fma_f16 v46, v50, s16, -v48
	v_add_f16_e32 v46, v46, v47
	v_add_f16_e32 v47, v29, v31
	v_sub_f16_e32 v29, v29, v31
	v_add_f16_e32 v31, v30, v32
	v_sub_f16_e32 v30, v30, v32
	v_mul_f16_e32 v32, 0xba62, v30
	v_add_f16_e32 v78, v78, v80
	v_fma_f16 v80, v50, s16, v48
	v_fma_f16 v48, v47, s16, -v32
	v_mul_f16_e32 v49, 0xba62, v29
	v_fma_f16 v32, v47, s16, v32
	v_add_f16_e32 v76, v76, v79
	v_fma_f16 v79, v50, s15, v77
	v_fma_f16 v77, v50, s15, -v77
	v_fma_f16 v50, v31, s16, v49
	v_add_f16_e32 v32, v32, v51
	v_fma_f16 v49, v31, s16, -v49
	v_mul_f16_e32 v51, 0x3bb2, v30
	v_add_f16_e32 v48, v48, v52
	v_add_f16_e32 v49, v49, v53
	v_fma_f16 v52, v47, s14, -v51
	v_mul_f16_e32 v53, 0x3bb2, v29
	v_fma_f16 v51, v47, s14, v51
	v_add_f16_e32 v52, v52, v56
	v_fma_f16 v56, v31, s14, v53
	v_add_f16_e32 v51, v51, v54
	v_fma_f16 v53, v31, s14, -v53
	v_mul_f16_e32 v54, 0xb5c8, v30
	v_add_f16_e32 v50, v50, v58
	v_add_f16_e32 v53, v53, v55
	v_fma_f16 v55, v47, s15, -v54
	v_mul_f16_e32 v58, 0xb5c8, v29
	v_fma_f16 v54, v47, s15, v54
	v_add_f16_e32 v55, v55, v59
	;; [unrolled: 10-line block ×4, first 2 shown]
	v_fma_f16 v67, v31, s7, v65
	v_add_f16_e32 v62, v62, v66
	v_fma_f16 v65, v31, s7, -v65
	v_mul_f16_e32 v66, 0xb964, v30
	v_add_f16_e32 v86, v86, v89
	v_add_f16_e32 v64, v64, v68
	;; [unrolled: 1-line block ×3, first 2 shown]
	v_fma_f16 v68, v47, s9, -v66
	v_mul_f16_e32 v69, 0xb964, v29
	v_fma_f16 v66, v47, s9, v66
	v_add_f16_e32 v82, v82, v86
	v_add_f16_e32 v67, v67, v71
	v_fma_f16 v71, v31, s9, v69
	v_add_f16_e32 v66, v66, v70
	v_fma_f16 v69, v31, s9, -v69
	v_mul_f16_e32 v70, 0xb1e1, v30
	v_add_f16_e32 v75, v75, v82
	v_add_f16_e32 v68, v68, v72
	;; [unrolled: 1-line block ×3, first 2 shown]
	v_fma_f16 v72, v47, s18, -v70
	v_mul_f16_e32 v73, 0xb1e1, v29
	v_mul_f16_e32 v29, 0x3b29, v29
	v_add_f16_e32 v71, v71, v75
	v_add_f16_e32 v72, v72, v76
	v_fma_f16 v75, v31, s18, v73
	v_fma_f16 v70, v47, s18, v70
	v_fma_f16 v73, v31, s18, -v73
	v_mul_f16_e32 v30, 0x3b29, v30
	v_fma_f16 v76, v31, s8, v29
	v_fma_f16 v29, v31, s8, -v29
	v_add_f16_e32 v31, v23, v27
	v_sub_f16_e32 v23, v23, v27
	v_add_f16_e32 v27, v26, v28
	v_sub_f16_e32 v26, v26, v28
	v_add_f16_e32 v70, v70, v74
	v_fma_f16 v74, v47, s8, -v30
	v_fma_f16 v30, v47, s8, v30
	v_mul_f16_e32 v28, 0xb836, v26
	v_add_f16_e32 v30, v30, v33
	v_add_f16_e32 v29, v29, v46
	v_fma_f16 v33, v31, s17, -v28
	v_mul_f16_e32 v46, 0xb836, v23
	v_fma_f16 v28, v31, s17, v28
	v_fma_f16 v47, v27, s17, v46
	v_add_f16_e32 v28, v28, v32
	v_fma_f16 v32, v27, s17, -v46
	v_mul_f16_e32 v46, 0x3b29, v26
	v_add_f16_e32 v33, v33, v48
	v_add_f16_e32 v32, v32, v49
	v_fma_f16 v48, v31, s8, -v46
	v_mul_f16_e32 v49, 0x3b29, v23
	v_fma_f16 v46, v31, s8, v46
	v_add_f16_e32 v51, v46, v51
	v_fma_f16 v46, v27, s8, -v49
	v_add_f16_e32 v47, v47, v50
	v_fma_f16 v50, v27, s8, v49
	v_add_f16_e32 v49, v46, v53
	v_mul_f16_e32 v46, 0xbbf7, v26
	v_add_f16_e32 v48, v48, v52
	v_fma_f16 v52, v31, s7, -v46
	v_mul_f16_e32 v53, 0xbbf7, v23
	v_fma_f16 v46, v31, s7, v46
	v_add_f16_e32 v54, v46, v54
	v_fma_f16 v46, v27, s7, -v53
	v_add_f16_e32 v52, v52, v55
	v_fma_f16 v55, v27, s7, v53
	v_add_f16_e32 v53, v46, v57
	v_mul_f16_e32 v46, 0x3a62, v26
	v_add_f16_e32 v85, v85, v90
	v_add_f16_e32 v50, v50, v56
	v_fma_f16 v56, v31, s16, -v46
	v_mul_f16_e32 v57, 0x3a62, v23
	v_fma_f16 v46, v31, s16, v46
	v_add_f16_e32 v91, v95, v91
	v_add_f16_e32 v81, v81, v85
	;; [unrolled: 1-line block ×3, first 2 shown]
	v_fma_f16 v46, v27, s16, -v57
	v_add_f16_e32 v88, v88, v91
	v_add_f16_e32 v77, v77, v81
	;; [unrolled: 1-line block ×3, first 2 shown]
	v_fma_f16 v59, v27, s16, v57
	v_add_f16_e32 v57, v46, v61
	v_mul_f16_e32 v46, 0xb5c8, v26
	v_add_f16_e32 v84, v84, v88
	v_add_f16_e32 v73, v73, v77
	;; [unrolled: 1-line block ×3, first 2 shown]
	v_fma_f16 v59, v31, s15, -v46
	v_add_f16_e32 v79, v79, v84
	v_add_f16_e32 v74, v74, v78
	;; [unrolled: 1-line block ×3, first 2 shown]
	v_mul_f16_e32 v59, 0xb5c8, v23
	v_fma_f16 v46, v31, s15, v46
	v_add_f16_e32 v75, v75, v79
	v_add_f16_e32 v79, v46, v62
	v_fma_f16 v46, v27, s15, -v59
	v_add_f16_e32 v65, v46, v65
	v_mul_f16_e32 v46, 0xb1e1, v26
	v_add_f16_e32 v56, v56, v60
	v_fma_f16 v60, v27, s15, v59
	v_fma_f16 v59, v31, s18, -v46
	v_add_f16_e32 v68, v59, v68
	v_mul_f16_e32 v59, 0xb1e1, v23
	v_fma_f16 v46, v31, s18, v46
	v_add_f16_e32 v66, v46, v66
	v_fma_f16 v46, v27, s18, -v59
	v_add_f16_e32 v92, v92, v93
	v_add_f16_e32 v69, v46, v69
	v_mul_f16_e32 v46, 0x3964, v26
	v_add_f16_e32 v87, v87, v92
	v_add_f16_e32 v67, v60, v67
	v_fma_f16 v60, v27, s18, v59
	v_fma_f16 v59, v31, s9, -v46
	v_add_f16_e32 v83, v83, v87
	v_add_f16_e32 v72, v59, v72
	v_mul_f16_e32 v59, 0x3964, v23
	v_fma_f16 v46, v31, s9, v46
	v_sub_f16_e32 v85, v3, v22
	v_add_f16_e32 v80, v80, v83
	v_add_f16_e32 v70, v46, v70
	v_fma_f16 v46, v27, s9, -v59
	v_mul_f16_e32 v26, 0xbbb2, v26
	v_add_f16_e32 v82, v2, v20
	v_sub_f16_e32 v83, v2, v20
	v_mul_f16_e32 v2, 0xb1e1, v85
	v_add_f16_e32 v73, v46, v73
	v_fma_f16 v46, v31, s14, -v26
	v_mul_f16_e32 v23, 0xbbb2, v23
	v_add_f16_e32 v84, v3, v22
	v_fma_f16 v3, v82, s18, -v2
	v_add_f16_e32 v76, v76, v80
	v_add_f16_e32 v74, v46, v74
	v_fma_f16 v46, v27, s14, v23
	v_add_f16_e32 v63, v3, v33
	v_mul_f16_e32 v3, 0xb1e1, v83
	v_fma_f16 v2, v82, s18, v2
	v_add_f16_e32 v76, v46, v76
	v_fma_f16 v20, v84, s18, v3
	v_add_f16_e32 v46, v2, v28
	v_fma_f16 v2, v84, s18, -v3
	v_add_f16_e32 v64, v20, v47
	v_add_f16_e32 v47, v2, v32
	v_mul_f16_e32 v2, 0x35c8, v85
	v_fma_f16 v3, v82, s15, -v2
	v_add_f16_e32 v71, v60, v71
	v_fma_f16 v60, v27, s9, v59
	v_add_f16_e32 v59, v3, v48
	v_mul_f16_e32 v3, 0x35c8, v83
	v_fma_f16 v20, v84, s15, v3
	v_add_f16_e32 v75, v60, v75
	v_add_f16_e32 v60, v20, v50
	v_mul_f16_e32 v20, 0xb836, v85
	v_fma_f16 v22, v82, s17, -v20
	v_fma_f16 v23, v27, s14, -v23
	v_add_f16_e32 v61, v22, v52
	v_mul_f16_e32 v22, 0xb836, v83
	v_add_f16_e32 v81, v23, v29
	v_fma_f16 v23, v84, s17, v22
	v_fma_f16 v26, v31, s14, v26
	v_add_f16_e32 v62, v23, v55
	v_mul_f16_e32 v23, 0x3964, v85
	v_add_f16_e32 v80, v26, v30
	v_fma_f16 v26, v82, s9, -v23
	v_add_f16_e32 v55, v26, v56
	v_mul_f16_e32 v26, 0x3964, v83
	v_fma_f16 v27, v84, s9, v26
	v_add_f16_e32 v56, v27, v77
	v_mul_f16_e32 v27, 0xba62, v85
	v_fma_f16 v26, v84, s9, -v26
	v_fma_f16 v28, v82, s16, -v27
	v_add_f16_e32 v26, v26, v57
	v_add_f16_e32 v57, v28, v78
	v_mul_f16_e32 v28, 0xba62, v83
	v_fma_f16 v23, v82, s9, v23
	v_fma_f16 v29, v84, s16, v28
	v_add_f16_e32 v23, v23, v58
	v_add_f16_e32 v58, v29, v67
	v_mul_f16_e32 v29, 0x3b29, v85
	v_fma_f16 v2, v82, s15, v2
	v_fma_f16 v30, v82, s8, -v29
	v_add_f16_e32 v2, v2, v51
	v_fma_f16 v28, v84, s16, -v28
	v_add_f16_e32 v51, v30, v68
	v_mul_f16_e32 v30, 0x3b29, v83
	v_add_f16_e32 v28, v28, v65
	v_fma_f16 v31, v84, s8, v30
	v_mov_b32_e32 v65, 0x484
	v_add_f16_e32 v52, v31, v71
	v_mul_f16_e32 v31, 0xbbb2, v85
	v_cndmask_b32_e64 v65, 0, v65, s[2:3]
	v_fma_f16 v22, v84, s17, -v22
	v_fma_f16 v32, v82, s14, -v31
	v_add_u32_e32 v65, 0, v65
	v_fma_f16 v3, v84, s15, -v3
	v_add_f16_e32 v22, v22, v53
	v_add_f16_e32 v53, v32, v72
	v_mul_f16_e32 v32, 0xbbb2, v83
	v_add3_u32 v24, v65, v25, v24
	v_pack_b32_f16 v0, v0, v1
	v_pack_b32_f16 v1, v63, v64
	v_add_f16_e32 v3, v3, v49
	v_fma_f16 v20, v82, s17, v20
	v_fma_f16 v33, v84, s14, v32
	v_mul_f16_e32 v49, 0x3bf7, v85
	v_mul_f16_e32 v50, 0x3bf7, v83
	s_barrier
	ds_write2_b32 v24, v0, v1 offset1:17
	v_pack_b32_f16 v0, v59, v60
	v_pack_b32_f16 v1, v61, v62
	v_add_f16_e32 v20, v20, v54
	v_add_f16_e32 v54, v33, v75
	v_fma_f16 v33, v82, s7, -v49
	v_fma_f16 v48, v84, s7, v50
	v_fma_f16 v49, v82, s7, v49
	v_fma_f16 v50, v84, s7, -v50
	ds_write2_b32 v24, v0, v1 offset0:34 offset1:51
	v_pack_b32_f16 v0, v55, v56
	v_pack_b32_f16 v1, v57, v58
	v_fma_f16 v29, v82, s8, v29
	v_fma_f16 v30, v84, s8, -v30
	v_fma_f16 v31, v82, s14, v31
	v_fma_f16 v32, v84, s14, -v32
	v_add_f16_e32 v33, v33, v74
	v_add_f16_e32 v48, v48, v76
	;; [unrolled: 1-line block ×4, first 2 shown]
	ds_write2_b32 v24, v0, v1 offset0:68 offset1:85
	v_pack_b32_f16 v0, v51, v52
	v_pack_b32_f16 v1, v53, v54
	v_fma_f16 v27, v82, s16, v27
	v_add_f16_e32 v29, v29, v66
	v_add_f16_e32 v30, v30, v69
	;; [unrolled: 1-line block ×4, first 2 shown]
	ds_write2_b32 v24, v0, v1 offset0:102 offset1:119
	v_pack_b32_f16 v0, v33, v48
	v_pack_b32_f16 v1, v49, v50
	v_add_f16_e32 v27, v27, v79
	ds_write2_b32 v24, v0, v1 offset0:136 offset1:153
	v_pack_b32_f16 v0, v31, v32
	v_pack_b32_f16 v1, v29, v30
	ds_write2_b32 v24, v0, v1 offset0:170 offset1:187
	v_pack_b32_f16 v0, v27, v28
	v_pack_b32_f16 v1, v23, v26
	;; [unrolled: 3-line block ×3, first 2 shown]
	ds_write2_b32 v24, v0, v1 offset0:238 offset1:255
	v_pack_b32_f16 v0, v46, v47
	ds_write_b32 v24, v0 offset:1088
	s_waitcnt lgkmcnt(0)
	s_barrier
	ds_read2_b32 v[28:29], v7 offset0:33 offset1:67
	ds_read2_b32 v[30:31], v7 offset0:101 offset1:135
	;; [unrolled: 1-line block ×4, first 2 shown]
	ds_read_b32 v50, v35
	ds_read_b32 v51, v45
	;; [unrolled: 1-line block ×8, first 2 shown]
                                        ; implicit-def: $vgpr49
                                        ; implicit-def: $vgpr48
	s_and_saveexec_b64 s[2:3], s[0:1]
	s_cbranch_execz .LBB0_14
; %bb.13:
	ds_read_b32 v46, v38
	ds_read_b32 v48, v37 offset:2244
	v_mov_b32_e32 v19, v10
	s_waitcnt lgkmcnt(1)
	v_lshrrev_b32_e32 v47, 16, v46
	s_waitcnt lgkmcnt(0)
	v_lshrrev_b32_e32 v49, 16, v48
.LBB0_14:
	s_or_b64 exec, exec, s[2:3]
	v_mov_b32_e32 v18, v21
	v_lshlrev_b64 v[0:1], 2, v[17:18]
	v_mov_b32_e32 v57, s13
	v_add_co_u32_e64 v22, s[2:3], s12, v0
	v_mov_b32_e32 v17, v21
	v_addc_co_u32_e64 v23, s[2:3], v57, v1, s[2:3]
	v_lshlrev_b64 v[0:1], 2, v[16:17]
	v_mov_b32_e32 v16, v21
	v_add_co_u32_e64 v17, s[2:3], s12, v0
	v_addc_co_u32_e64 v18, s[2:3], v57, v1, s[2:3]
	v_lshlrev_b64 v[0:1], 2, v[15:16]
	v_mov_b32_e32 v15, v21
	v_add_co_u32_e64 v24, s[2:3], s12, v0
	v_addc_co_u32_e64 v25, s[2:3], v57, v1, s[2:3]
	v_lshlrev_b64 v[0:1], 2, v[14:15]
	v_mov_b32_e32 v14, v21
	v_add_co_u32_e64 v0, s[2:3], s12, v0
	v_lshlrev_b64 v[2:3], 2, v[13:14]
	v_addc_co_u32_e64 v1, s[2:3], v57, v1, s[2:3]
	v_mov_b32_e32 v13, v21
	v_add_co_u32_e64 v2, s[2:3], s12, v2
	v_lshlrev_b64 v[13:14], 2, v[12:13]
	v_addc_co_u32_e64 v3, s[2:3], v57, v3, s[2:3]
	v_mov_b32_e32 v7, v21
	v_add_co_u32_e64 v13, s[2:3], s12, v13
	v_lshlrev_b64 v[15:16], 2, v[6:7]
	v_addc_co_u32_e64 v14, s[2:3], v57, v14, s[2:3]
	v_add_co_u32_e64 v15, s[2:3], s12, v15
	v_addc_co_u32_e64 v16, s[2:3], v57, v16, s[2:3]
	global_load_dword v58, v[13:14], off offset:1088
	global_load_dword v59, v[2:3], off offset:1088
	;; [unrolled: 1-line block ×7, first 2 shown]
	v_mov_b32_e32 v12, v21
	v_lshlrev_b64 v[11:12], 2, v[11:12]
	v_add_co_u32_e64 v11, s[2:3], s12, v11
	v_addc_co_u32_e64 v12, s[2:3], v57, v12, s[2:3]
	global_load_dword v21, v[11:12], off offset:1088
	s_waitcnt vmcnt(0) lgkmcnt(0)
	s_barrier
	v_pk_mul_f16 v57, v58, v26 op_sel:[0,1]
	v_pk_mul_f16 v64, v59, v33 op_sel:[0,1]
	;; [unrolled: 1-line block ×3, first 2 shown]
	v_pk_fma_f16 v69, v58, v26, v57 op_sel:[0,0,1] op_sel_hi:[1,1,0] neg_lo:[0,0,1] neg_hi:[0,0,1]
	v_pk_fma_f16 v26, v58, v26, v57 op_sel:[0,0,1] op_sel_hi:[1,0,0]
	v_pk_fma_f16 v57, v59, v33, v64 op_sel:[0,0,1] op_sel_hi:[1,1,0] neg_lo:[0,0,1] neg_hi:[0,0,1]
	v_pk_fma_f16 v33, v59, v33, v64 op_sel:[0,0,1] op_sel_hi:[1,0,0]
	;; [unrolled: 2-line block ×3, first 2 shown]
	v_bfi_b32 v33, s6, v57, v33
	v_pk_mul_f16 v57, v7, v28 op_sel:[0,1]
	v_pk_mul_f16 v66, v61, v31 op_sel:[0,1]
	;; [unrolled: 1-line block ×4, first 2 shown]
	v_bfi_b32 v32, s6, v58, v32
	v_pk_fma_f16 v58, v7, v28, v57 op_sel:[0,0,1] op_sel_hi:[1,1,0] neg_lo:[0,0,1] neg_hi:[0,0,1]
	v_pk_fma_f16 v7, v7, v28, v57 op_sel:[0,0,1] op_sel_hi:[1,0,0]
	v_pk_fma_f16 v59, v61, v31, v66 op_sel:[0,0,1] op_sel_hi:[1,1,0] neg_lo:[0,0,1] neg_hi:[0,0,1]
	v_pk_fma_f16 v31, v61, v31, v66 op_sel:[0,0,1] op_sel_hi:[1,0,0]
	;; [unrolled: 2-line block ×4, first 2 shown]
	v_bfi_b32 v7, s6, v58, v7
	v_bfi_b32 v26, s6, v69, v26
	v_bfi_b32 v31, s6, v59, v31
	v_bfi_b32 v30, s6, v60, v30
	v_bfi_b32 v29, s6, v61, v29
	v_pk_add_f16 v7, v50, v7 neg_lo:[0,1] neg_hi:[0,1]
	v_pk_add_f16 v26, v56, v26 neg_lo:[0,1] neg_hi:[0,1]
	;; [unrolled: 1-line block ×7, first 2 shown]
	v_pk_fma_f16 v28, v50, 2.0, v7 op_sel_hi:[1,0,1] neg_lo:[0,0,1] neg_hi:[0,0,1]
	v_pk_fma_f16 v56, v56, 2.0, v26 op_sel_hi:[1,0,1] neg_lo:[0,0,1] neg_hi:[0,0,1]
	;; [unrolled: 1-line block ×7, first 2 shown]
	ds_write_b32 v37, v28
	ds_write_b32 v37, v7 offset:1156
	ds_write_b32 v45, v51
	ds_write_b32 v45, v29 offset:1156
	;; [unrolled: 2-line block ×7, first 2 shown]
	v_pk_mul_f16 v7, v27, v21 op_sel:[0,1]
	v_pk_fma_f16 v26, v27, v21, v7 op_sel:[0,0,1] op_sel_hi:[1,1,0] neg_lo:[0,0,1] neg_hi:[0,0,1]
	v_pk_fma_f16 v7, v27, v21, v7 op_sel:[0,0,1] op_sel_hi:[1,0,0]
	v_bfi_b32 v7, s6, v26, v7
	v_pk_add_f16 v7, v20, v7 neg_lo:[0,1] neg_hi:[0,1]
	v_pk_fma_f16 v20, v20, 2.0, v7 op_sel_hi:[1,0,1] neg_lo:[0,0,1] neg_hi:[0,0,1]
	ds_write_b32 v39, v20
	ds_write_b32 v39, v7 offset:1156
	s_and_saveexec_b64 s[6:7], s[0:1]
	s_cbranch_execz .LBB0_16
; %bb.15:
	v_mov_b32_e32 v20, 0
	v_lshlrev_b64 v[19:20], 2, v[19:20]
	v_mov_b32_e32 v7, s13
	v_add_co_u32_e64 v19, s[2:3], s12, v19
	v_addc_co_u32_e64 v20, s[2:3], v7, v20, s[2:3]
	global_load_dword v7, v[19:20], off offset:1088
	s_waitcnt vmcnt(0)
	v_mul_f16_sdwa v19, v49, v7 dst_sel:DWORD dst_unused:UNUSED_PAD src0_sel:DWORD src1_sel:WORD_1
	v_mul_f16_sdwa v20, v48, v7 dst_sel:DWORD dst_unused:UNUSED_PAD src0_sel:DWORD src1_sel:WORD_1
	v_fma_f16 v19, v48, v7, -v19
	v_fma_f16 v7, v49, v7, v20
	v_sub_f16_e32 v19, v46, v19
	v_sub_f16_e32 v7, v47, v7
	v_fma_f16 v20, v46, 2.0, -v19
	v_fma_f16 v21, v47, 2.0, -v7
	v_pack_b32_f16 v7, v19, v7
	v_pack_b32_f16 v19, v20, v21
	ds_write_b32 v37, v19 offset:1088
	ds_write_b32 v37, v7 offset:2244
.LBB0_16:
	s_or_b64 exec, exec, s[6:7]
	s_waitcnt lgkmcnt(0)
	s_barrier
	ds_read_b32 v26, v35
	v_sub_u32_e32 v7, v34, v36
	v_cmp_ne_u32_e64 s[2:3], 0, v6
                                        ; implicit-def: $vgpr21
                                        ; implicit-def: $vgpr19
                                        ; implicit-def: $vgpr20
	s_and_saveexec_b64 s[6:7], s[2:3]
	s_xor_b64 s[2:3], exec, s[6:7]
	s_cbranch_execz .LBB0_18
; %bb.17:
	global_load_dword v15, v[15:16], off offset:2244
	ds_read_b32 v16, v7 offset:2312
	s_waitcnt lgkmcnt(0)
	v_add_f16_sdwa v20, v16, v26 dst_sel:DWORD dst_unused:UNUSED_PAD src0_sel:WORD_1 src1_sel:WORD_1
	v_sub_f16_e32 v21, v26, v16
	v_add_f16_e32 v19, v16, v26
	v_sub_f16_sdwa v16, v26, v16 dst_sel:DWORD dst_unused:UNUSED_PAD src0_sel:WORD_1 src1_sel:WORD_1
	v_mul_f16_e32 v26, 0.5, v20
	v_mul_f16_e32 v21, 0.5, v21
	;; [unrolled: 1-line block ×3, first 2 shown]
	s_waitcnt vmcnt(0)
	v_lshrrev_b32_e32 v20, 16, v15
	v_mul_f16_e32 v27, v20, v21
	v_fma_f16 v29, v19, 0.5, v27
	v_fma_f16 v28, v26, v20, v16
	v_fma_f16 v16, v26, v20, -v16
	v_fma_f16 v19, v19, 0.5, -v27
	v_fma_f16 v27, v15, v26, v29
	v_fma_f16 v20, -v15, v21, v28
	v_fma_f16 v19, -v15, v26, v19
	ds_write_b16 v35, v27
	v_fma_f16 v21, -v15, v21, v16
                                        ; implicit-def: $vgpr26
.LBB0_18:
	s_andn2_saveexec_b64 s[2:3], s[2:3]
	s_cbranch_execz .LBB0_20
; %bb.19:
	ds_read_u16 v15, v34 offset:1158
	s_waitcnt lgkmcnt(1)
	v_add_f16_sdwa v16, v26, v26 dst_sel:DWORD dst_unused:UNUSED_PAD src0_sel:WORD_1 src1_sel:DWORD
	v_sub_f16_sdwa v19, v26, v26 dst_sel:DWORD dst_unused:UNUSED_PAD src0_sel:DWORD src1_sel:WORD_1
	v_mov_b32_e32 v20, 0
	v_mov_b32_e32 v21, 0
	s_waitcnt lgkmcnt(0)
	v_xor_b32_e32 v15, 0x8000, v15
	ds_write_b16 v35, v16
	ds_write_b16 v34, v15 offset:1158
.LBB0_20:
	s_or_b64 exec, exec, s[2:3]
	global_load_dword v15, v[22:23], off offset:2244
	global_load_dword v16, v[17:18], off offset:2244
	s_waitcnt lgkmcnt(0)
	global_load_dword v26, v[24:25], off offset:2244
	s_mov_b32 s2, 0x5040100
	v_perm_b32 v17, v21, v19, s2
	ds_write_b16 v35, v20 offset:2
	ds_write_b32 v7, v17 offset:2312
	ds_read_b32 v18, v7 offset:2176
	ds_read_b32 v17, v45
	global_load_dword v19, v[0:1], off offset:2244
	global_load_dword v20, v[2:3], off offset:2244
	;; [unrolled: 1-line block ×4, first 2 shown]
	s_mov_b32 s6, 0xffff
	s_waitcnt lgkmcnt(0)
	v_pk_add_f16 v0, v17, v18 neg_lo:[0,1] neg_hi:[0,1]
	v_pk_add_f16 v1, v17, v18
	v_bfi_b32 v2, s6, v0, v1
	v_bfi_b32 v0, s6, v1, v0
	v_pk_mul_f16 v1, v2, 0.5 op_sel_hi:[1,0]
	v_pk_mul_f16 v0, v0, 0.5 op_sel_hi:[1,0]
	s_waitcnt vmcnt(6)
	v_pk_fma_f16 v2, v15, v1, v0 op_sel:[1,0,0]
	v_pk_mul_f16 v3, v15, v1 op_sel_hi:[0,1]
	v_pk_fma_f16 v11, v15, v1, v0 op_sel:[1,0,0] neg_lo:[1,0,0] neg_hi:[1,0,0]
	v_pk_fma_f16 v0, v15, v1, v0 op_sel:[1,0,0] neg_lo:[0,0,1] neg_hi:[0,0,1]
	v_pk_add_f16 v1, v2, v3 op_sel:[0,1] op_sel_hi:[1,0]
	v_pk_add_f16 v2, v2, v3 op_sel:[0,1] op_sel_hi:[1,0] neg_lo:[0,1] neg_hi:[0,1]
	v_pk_add_f16 v11, v11, v3 op_sel:[0,1] op_sel_hi:[1,0] neg_lo:[0,1] neg_hi:[0,1]
	v_pk_add_f16 v0, v0, v3 op_sel:[0,1] op_sel_hi:[1,0] neg_lo:[0,1] neg_hi:[0,1]
	v_bfi_b32 v1, s6, v1, v2
	v_bfi_b32 v0, s6, v11, v0
	ds_write_b32 v45, v1
	ds_write_b32 v7, v0 offset:2176
	ds_read_b32 v0, v44
	ds_read_b32 v1, v7 offset:2040
	s_waitcnt lgkmcnt(0)
	v_pk_add_f16 v2, v0, v1 neg_lo:[0,1] neg_hi:[0,1]
	v_pk_add_f16 v0, v0, v1
	v_bfi_b32 v1, s6, v2, v0
	v_bfi_b32 v0, s6, v0, v2
	v_pk_mul_f16 v1, v1, 0.5 op_sel_hi:[1,0]
	v_pk_mul_f16 v0, v0, 0.5 op_sel_hi:[1,0]
	s_waitcnt vmcnt(5)
	v_pk_fma_f16 v2, v16, v1, v0 op_sel:[1,0,0]
	v_pk_mul_f16 v3, v16, v1 op_sel_hi:[0,1]
	v_pk_fma_f16 v11, v16, v1, v0 op_sel:[1,0,0] neg_lo:[1,0,0] neg_hi:[1,0,0]
	v_pk_fma_f16 v0, v16, v1, v0 op_sel:[1,0,0] neg_lo:[0,0,1] neg_hi:[0,0,1]
	v_pk_add_f16 v1, v2, v3 op_sel:[0,1] op_sel_hi:[1,0]
	v_pk_add_f16 v2, v2, v3 op_sel:[0,1] op_sel_hi:[1,0] neg_lo:[0,1] neg_hi:[0,1]
	v_pk_add_f16 v11, v11, v3 op_sel:[0,1] op_sel_hi:[1,0] neg_lo:[0,1] neg_hi:[0,1]
	v_pk_add_f16 v0, v0, v3 op_sel:[0,1] op_sel_hi:[1,0] neg_lo:[0,1] neg_hi:[0,1]
	v_bfi_b32 v1, s6, v1, v2
	v_bfi_b32 v0, s6, v11, v0
	ds_write_b32 v44, v1
	ds_write_b32 v7, v0 offset:2040
	ds_read_b32 v0, v41
	ds_read_b32 v1, v7 offset:1904
	s_waitcnt lgkmcnt(0)
	v_pk_add_f16 v2, v0, v1 neg_lo:[0,1] neg_hi:[0,1]
	v_pk_add_f16 v0, v0, v1
	v_bfi_b32 v1, s6, v2, v0
	v_bfi_b32 v0, s6, v0, v2
	v_pk_mul_f16 v1, v1, 0.5 op_sel_hi:[1,0]
	v_pk_mul_f16 v0, v0, 0.5 op_sel_hi:[1,0]
	s_waitcnt vmcnt(4)
	v_pk_fma_f16 v2, v26, v1, v0 op_sel:[1,0,0]
	v_pk_mul_f16 v3, v26, v1 op_sel_hi:[0,1]
	v_pk_fma_f16 v11, v26, v1, v0 op_sel:[1,0,0] neg_lo:[1,0,0] neg_hi:[1,0,0]
	v_pk_fma_f16 v0, v26, v1, v0 op_sel:[1,0,0] neg_lo:[0,0,1] neg_hi:[0,0,1]
	v_pk_add_f16 v1, v2, v3 op_sel:[0,1] op_sel_hi:[1,0]
	v_pk_add_f16 v2, v2, v3 op_sel:[0,1] op_sel_hi:[1,0] neg_lo:[0,1] neg_hi:[0,1]
	v_pk_add_f16 v11, v11, v3 op_sel:[0,1] op_sel_hi:[1,0] neg_lo:[0,1] neg_hi:[0,1]
	v_pk_add_f16 v0, v0, v3 op_sel:[0,1] op_sel_hi:[1,0] neg_lo:[0,1] neg_hi:[0,1]
	v_bfi_b32 v1, s6, v1, v2
	v_bfi_b32 v0, s6, v11, v0
	ds_write_b32 v41, v1
	ds_write_b32 v7, v0 offset:1904
	ds_read_b32 v0, v43
	ds_read_b32 v1, v7 offset:1768
	s_waitcnt lgkmcnt(0)
	v_pk_add_f16 v2, v0, v1 neg_lo:[0,1] neg_hi:[0,1]
	v_pk_add_f16 v0, v0, v1
	v_bfi_b32 v1, s6, v2, v0
	v_bfi_b32 v0, s6, v0, v2
	v_pk_mul_f16 v1, v1, 0.5 op_sel_hi:[1,0]
	v_pk_mul_f16 v0, v0, 0.5 op_sel_hi:[1,0]
	s_waitcnt vmcnt(3)
	v_pk_fma_f16 v2, v19, v1, v0 op_sel:[1,0,0]
	v_pk_mul_f16 v3, v19, v1 op_sel_hi:[0,1]
	v_pk_fma_f16 v11, v19, v1, v0 op_sel:[1,0,0] neg_lo:[1,0,0] neg_hi:[1,0,0]
	v_pk_fma_f16 v0, v19, v1, v0 op_sel:[1,0,0] neg_lo:[0,0,1] neg_hi:[0,0,1]
	v_pk_add_f16 v1, v2, v3 op_sel:[0,1] op_sel_hi:[1,0]
	v_pk_add_f16 v2, v2, v3 op_sel:[0,1] op_sel_hi:[1,0] neg_lo:[0,1] neg_hi:[0,1]
	v_pk_add_f16 v11, v11, v3 op_sel:[0,1] op_sel_hi:[1,0] neg_lo:[0,1] neg_hi:[0,1]
	v_pk_add_f16 v0, v0, v3 op_sel:[0,1] op_sel_hi:[1,0] neg_lo:[0,1] neg_hi:[0,1]
	v_bfi_b32 v1, s6, v1, v2
	v_bfi_b32 v0, s6, v11, v0
	ds_write_b32 v43, v1
	ds_write_b32 v7, v0 offset:1768
	ds_read_b32 v0, v42
	ds_read_b32 v1, v7 offset:1632
	s_waitcnt lgkmcnt(0)
	v_pk_add_f16 v2, v0, v1 neg_lo:[0,1] neg_hi:[0,1]
	v_pk_add_f16 v0, v0, v1
	v_bfi_b32 v1, s6, v2, v0
	v_bfi_b32 v0, s6, v0, v2
	v_pk_mul_f16 v1, v1, 0.5 op_sel_hi:[1,0]
	v_pk_mul_f16 v0, v0, 0.5 op_sel_hi:[1,0]
	s_waitcnt vmcnt(2)
	v_pk_fma_f16 v2, v20, v1, v0 op_sel:[1,0,0]
	v_pk_mul_f16 v3, v20, v1 op_sel_hi:[0,1]
	v_pk_fma_f16 v11, v20, v1, v0 op_sel:[1,0,0] neg_lo:[1,0,0] neg_hi:[1,0,0]
	v_pk_fma_f16 v0, v20, v1, v0 op_sel:[1,0,0] neg_lo:[0,0,1] neg_hi:[0,0,1]
	v_pk_add_f16 v1, v2, v3 op_sel:[0,1] op_sel_hi:[1,0]
	v_pk_add_f16 v2, v2, v3 op_sel:[0,1] op_sel_hi:[1,0] neg_lo:[0,1] neg_hi:[0,1]
	v_pk_add_f16 v11, v11, v3 op_sel:[0,1] op_sel_hi:[1,0] neg_lo:[0,1] neg_hi:[0,1]
	v_pk_add_f16 v0, v0, v3 op_sel:[0,1] op_sel_hi:[1,0] neg_lo:[0,1] neg_hi:[0,1]
	v_bfi_b32 v1, s6, v1, v2
	v_bfi_b32 v0, s6, v11, v0
	ds_write_b32 v42, v1
	ds_write_b32 v7, v0 offset:1632
	ds_read_b32 v0, v40
	ds_read_b32 v1, v7 offset:1496
	s_waitcnt lgkmcnt(0)
	v_pk_add_f16 v2, v0, v1 neg_lo:[0,1] neg_hi:[0,1]
	v_pk_add_f16 v0, v0, v1
	v_bfi_b32 v1, s6, v2, v0
	v_bfi_b32 v0, s6, v0, v2
	v_pk_mul_f16 v1, v1, 0.5 op_sel_hi:[1,0]
	v_pk_mul_f16 v0, v0, 0.5 op_sel_hi:[1,0]
	s_waitcnt vmcnt(1)
	v_pk_fma_f16 v2, v21, v1, v0 op_sel:[1,0,0]
	v_pk_mul_f16 v3, v21, v1 op_sel_hi:[0,1]
	v_pk_fma_f16 v11, v21, v1, v0 op_sel:[1,0,0] neg_lo:[1,0,0] neg_hi:[1,0,0]
	v_pk_fma_f16 v0, v21, v1, v0 op_sel:[1,0,0] neg_lo:[0,0,1] neg_hi:[0,0,1]
	v_pk_add_f16 v1, v2, v3 op_sel:[0,1] op_sel_hi:[1,0]
	v_pk_add_f16 v2, v2, v3 op_sel:[0,1] op_sel_hi:[1,0] neg_lo:[0,1] neg_hi:[0,1]
	v_pk_add_f16 v11, v11, v3 op_sel:[0,1] op_sel_hi:[1,0] neg_lo:[0,1] neg_hi:[0,1]
	v_pk_add_f16 v0, v0, v3 op_sel:[0,1] op_sel_hi:[1,0] neg_lo:[0,1] neg_hi:[0,1]
	v_bfi_b32 v1, s6, v1, v2
	v_bfi_b32 v0, s6, v11, v0
	ds_write_b32 v40, v1
	ds_write_b32 v7, v0 offset:1496
	ds_read_b32 v0, v39
	ds_read_b32 v1, v7 offset:1360
	s_waitcnt lgkmcnt(0)
	v_pk_add_f16 v2, v0, v1 neg_lo:[0,1] neg_hi:[0,1]
	v_pk_add_f16 v0, v0, v1
	v_bfi_b32 v1, s6, v2, v0
	v_bfi_b32 v0, s6, v0, v2
	v_pk_mul_f16 v1, v1, 0.5 op_sel_hi:[1,0]
	v_pk_mul_f16 v0, v0, 0.5 op_sel_hi:[1,0]
	s_waitcnt vmcnt(0)
	v_pk_fma_f16 v2, v22, v1, v0 op_sel:[1,0,0]
	v_pk_mul_f16 v3, v22, v1 op_sel_hi:[0,1]
	v_pk_fma_f16 v11, v22, v1, v0 op_sel:[1,0,0] neg_lo:[1,0,0] neg_hi:[1,0,0]
	v_pk_fma_f16 v0, v22, v1, v0 op_sel:[1,0,0] neg_lo:[0,0,1] neg_hi:[0,0,1]
	v_pk_add_f16 v1, v2, v3 op_sel:[0,1] op_sel_hi:[1,0]
	v_pk_add_f16 v2, v2, v3 op_sel:[0,1] op_sel_hi:[1,0] neg_lo:[0,1] neg_hi:[0,1]
	v_pk_add_f16 v11, v11, v3 op_sel:[0,1] op_sel_hi:[1,0] neg_lo:[0,1] neg_hi:[0,1]
	;; [unrolled: 1-line block ×3, first 2 shown]
	v_bfi_b32 v1, s6, v1, v2
	v_bfi_b32 v0, s6, v11, v0
	ds_write_b32 v39, v1
	ds_write_b32 v7, v0 offset:1360
	s_and_saveexec_b64 s[2:3], s[0:1]
	s_cbranch_execz .LBB0_22
; %bb.21:
	v_mov_b32_e32 v11, 0
	v_lshlrev_b64 v[0:1], 2, v[10:11]
	v_mov_b32_e32 v2, s13
	v_add_co_u32_e64 v0, s[0:1], s12, v0
	v_addc_co_u32_e64 v1, s[0:1], v2, v1, s[0:1]
	global_load_dword v0, v[0:1], off offset:2244
	ds_read_b32 v1, v38
	ds_read_b32 v2, v7 offset:1224
	s_waitcnt lgkmcnt(0)
	v_pk_add_f16 v3, v1, v2 neg_lo:[0,1] neg_hi:[0,1]
	v_pk_add_f16 v1, v1, v2
	v_bfi_b32 v2, s6, v3, v1
	v_bfi_b32 v1, s6, v1, v3
	v_pk_mul_f16 v2, v2, 0.5 op_sel_hi:[1,0]
	v_pk_mul_f16 v1, v1, 0.5 op_sel_hi:[1,0]
	s_waitcnt vmcnt(0)
	v_pk_fma_f16 v3, v0, v2, v1 op_sel:[1,0,0]
	v_pk_mul_f16 v10, v0, v2 op_sel_hi:[0,1]
	v_pk_fma_f16 v11, v0, v2, v1 op_sel:[1,0,0] neg_lo:[1,0,0] neg_hi:[1,0,0]
	v_pk_fma_f16 v0, v0, v2, v1 op_sel:[1,0,0] neg_lo:[0,0,1] neg_hi:[0,0,1]
	v_pk_add_f16 v1, v3, v10 op_sel:[0,1] op_sel_hi:[1,0]
	v_pk_add_f16 v2, v3, v10 op_sel:[0,1] op_sel_hi:[1,0] neg_lo:[0,1] neg_hi:[0,1]
	v_pk_add_f16 v3, v11, v10 op_sel:[0,1] op_sel_hi:[1,0] neg_lo:[0,1] neg_hi:[0,1]
	;; [unrolled: 1-line block ×3, first 2 shown]
	v_bfi_b32 v1, s6, v1, v2
	v_bfi_b32 v0, s6, v3, v0
	ds_write_b32 v38, v1
	ds_write_b32 v7, v0 offset:1224
.LBB0_22:
	s_or_b64 exec, exec, s[2:3]
	s_waitcnt lgkmcnt(0)
	s_barrier
	s_and_saveexec_b64 s[0:1], vcc
	s_cbranch_execz .LBB0_25
; %bb.23:
	v_mul_lo_u32 v2, s5, v8
	v_mul_lo_u32 v3, s4, v9
	v_mad_u64_u32 v[0:1], s[0:1], s4, v8, 0
	v_mov_b32_e32 v7, 0
	v_add3_u32 v1, v1, v3, v2
	v_lshlrev_b64 v[0:1], 2, v[0:1]
	v_mov_b32_e32 v3, s11
	v_add_co_u32_e32 v10, vcc, s10, v0
	v_addc_co_u32_e32 v3, vcc, v3, v1, vcc
	v_lshlrev_b64 v[0:1], 2, v[4:5]
	v_lshl_add_u32 v2, v6, 2, v34
	ds_read2_b32 v[8:9], v2 offset1:34
	v_add_co_u32_e32 v0, vcc, v10, v0
	v_addc_co_u32_e32 v1, vcc, v3, v1, vcc
	v_lshlrev_b64 v[3:4], 2, v[6:7]
	v_add_u32_e32 v5, 0x400, v2
	v_add_co_u32_e32 v3, vcc, v0, v3
	v_addc_co_u32_e32 v4, vcc, v1, v4, vcc
	s_waitcnt lgkmcnt(0)
	global_store_dword v[3:4], v8, off
	v_add_u32_e32 v3, 34, v6
	v_mov_b32_e32 v4, v7
	v_lshlrev_b64 v[3:4], 2, v[3:4]
	v_add_co_u32_e32 v3, vcc, v0, v3
	v_addc_co_u32_e32 v4, vcc, v1, v4, vcc
	global_store_dword v[3:4], v9, off
	v_add_u32_e32 v3, 0x44, v6
	v_mov_b32_e32 v4, v7
	ds_read2_b32 v[8:9], v2 offset0:68 offset1:102
	v_lshlrev_b64 v[3:4], 2, v[3:4]
	v_add_co_u32_e32 v3, vcc, v0, v3
	v_addc_co_u32_e32 v4, vcc, v1, v4, vcc
	s_waitcnt lgkmcnt(0)
	global_store_dword v[3:4], v8, off
	v_add_u32_e32 v3, 0x66, v6
	v_mov_b32_e32 v4, v7
	v_lshlrev_b64 v[3:4], 2, v[3:4]
	v_add_co_u32_e32 v3, vcc, v0, v3
	v_addc_co_u32_e32 v4, vcc, v1, v4, vcc
	global_store_dword v[3:4], v9, off
	v_add_u32_e32 v3, 0x88, v6
	v_mov_b32_e32 v4, v7
	ds_read2_b32 v[8:9], v2 offset0:136 offset1:170
	v_lshlrev_b64 v[3:4], 2, v[3:4]
	;; [unrolled: 14-line block ×7, first 2 shown]
	ds_read_b32 v5, v2 offset:2176
	v_add_co_u32_e32 v3, vcc, v0, v3
	v_addc_co_u32_e32 v4, vcc, v1, v4, vcc
	s_waitcnt lgkmcnt(1)
	global_store_dword v[3:4], v8, off
	v_add_u32_e32 v3, 0x1fe, v6
	v_mov_b32_e32 v4, v7
	v_lshlrev_b64 v[3:4], 2, v[3:4]
	v_add_co_u32_e32 v3, vcc, v0, v3
	v_addc_co_u32_e32 v4, vcc, v1, v4, vcc
	global_store_dword v[3:4], v9, off
	v_add_u32_e32 v3, 0x220, v6
	v_mov_b32_e32 v4, v7
	v_lshlrev_b64 v[3:4], 2, v[3:4]
	v_add_co_u32_e32 v3, vcc, v0, v3
	v_addc_co_u32_e32 v4, vcc, v1, v4, vcc
	v_cmp_eq_u32_e32 vcc, 33, v6
	s_waitcnt lgkmcnt(0)
	global_store_dword v[3:4], v5, off
	s_and_b64 exec, exec, vcc
	s_cbranch_execz .LBB0_25
; %bb.24:
	ds_read_b32 v2, v2 offset:2180
	s_waitcnt lgkmcnt(0)
	global_store_dword v[0:1], v2, off offset:2312
.LBB0_25:
	s_endpgm
	.section	.rodata,"a",@progbits
	.p2align	6, 0x0
	.amdhsa_kernel fft_rtc_fwd_len578_factors_17_17_2_wgs_238_tpt_34_halfLds_half_op_CI_CI_unitstride_sbrr_R2C_dirReg
		.amdhsa_group_segment_fixed_size 0
		.amdhsa_private_segment_fixed_size 0
		.amdhsa_kernarg_size 104
		.amdhsa_user_sgpr_count 6
		.amdhsa_user_sgpr_private_segment_buffer 1
		.amdhsa_user_sgpr_dispatch_ptr 0
		.amdhsa_user_sgpr_queue_ptr 0
		.amdhsa_user_sgpr_kernarg_segment_ptr 1
		.amdhsa_user_sgpr_dispatch_id 0
		.amdhsa_user_sgpr_flat_scratch_init 0
		.amdhsa_user_sgpr_private_segment_size 0
		.amdhsa_uses_dynamic_stack 0
		.amdhsa_system_sgpr_private_segment_wavefront_offset 0
		.amdhsa_system_sgpr_workgroup_id_x 1
		.amdhsa_system_sgpr_workgroup_id_y 0
		.amdhsa_system_sgpr_workgroup_id_z 0
		.amdhsa_system_sgpr_workgroup_info 0
		.amdhsa_system_vgpr_workitem_id 0
		.amdhsa_next_free_vgpr 98
		.amdhsa_next_free_sgpr 28
		.amdhsa_reserve_vcc 1
		.amdhsa_reserve_flat_scratch 0
		.amdhsa_float_round_mode_32 0
		.amdhsa_float_round_mode_16_64 0
		.amdhsa_float_denorm_mode_32 3
		.amdhsa_float_denorm_mode_16_64 3
		.amdhsa_dx10_clamp 1
		.amdhsa_ieee_mode 1
		.amdhsa_fp16_overflow 0
		.amdhsa_exception_fp_ieee_invalid_op 0
		.amdhsa_exception_fp_denorm_src 0
		.amdhsa_exception_fp_ieee_div_zero 0
		.amdhsa_exception_fp_ieee_overflow 0
		.amdhsa_exception_fp_ieee_underflow 0
		.amdhsa_exception_fp_ieee_inexact 0
		.amdhsa_exception_int_div_zero 0
	.end_amdhsa_kernel
	.text
.Lfunc_end0:
	.size	fft_rtc_fwd_len578_factors_17_17_2_wgs_238_tpt_34_halfLds_half_op_CI_CI_unitstride_sbrr_R2C_dirReg, .Lfunc_end0-fft_rtc_fwd_len578_factors_17_17_2_wgs_238_tpt_34_halfLds_half_op_CI_CI_unitstride_sbrr_R2C_dirReg
                                        ; -- End function
	.section	.AMDGPU.csdata,"",@progbits
; Kernel info:
; codeLenInByte = 15868
; NumSgprs: 32
; NumVgprs: 98
; ScratchSize: 0
; MemoryBound: 0
; FloatMode: 240
; IeeeMode: 1
; LDSByteSize: 0 bytes/workgroup (compile time only)
; SGPRBlocks: 3
; VGPRBlocks: 24
; NumSGPRsForWavesPerEU: 32
; NumVGPRsForWavesPerEU: 98
; Occupancy: 2
; WaveLimiterHint : 1
; COMPUTE_PGM_RSRC2:SCRATCH_EN: 0
; COMPUTE_PGM_RSRC2:USER_SGPR: 6
; COMPUTE_PGM_RSRC2:TRAP_HANDLER: 0
; COMPUTE_PGM_RSRC2:TGID_X_EN: 1
; COMPUTE_PGM_RSRC2:TGID_Y_EN: 0
; COMPUTE_PGM_RSRC2:TGID_Z_EN: 0
; COMPUTE_PGM_RSRC2:TIDIG_COMP_CNT: 0
	.type	__hip_cuid_5a3cb04f904adc1,@object ; @__hip_cuid_5a3cb04f904adc1
	.section	.bss,"aw",@nobits
	.globl	__hip_cuid_5a3cb04f904adc1
__hip_cuid_5a3cb04f904adc1:
	.byte	0                               ; 0x0
	.size	__hip_cuid_5a3cb04f904adc1, 1

	.ident	"AMD clang version 19.0.0git (https://github.com/RadeonOpenCompute/llvm-project roc-6.4.0 25133 c7fe45cf4b819c5991fe208aaa96edf142730f1d)"
	.section	".note.GNU-stack","",@progbits
	.addrsig
	.addrsig_sym __hip_cuid_5a3cb04f904adc1
	.amdgpu_metadata
---
amdhsa.kernels:
  - .args:
      - .actual_access:  read_only
        .address_space:  global
        .offset:         0
        .size:           8
        .value_kind:     global_buffer
      - .offset:         8
        .size:           8
        .value_kind:     by_value
      - .actual_access:  read_only
        .address_space:  global
        .offset:         16
        .size:           8
        .value_kind:     global_buffer
      - .actual_access:  read_only
        .address_space:  global
        .offset:         24
        .size:           8
        .value_kind:     global_buffer
      - .actual_access:  read_only
        .address_space:  global
        .offset:         32
        .size:           8
        .value_kind:     global_buffer
      - .offset:         40
        .size:           8
        .value_kind:     by_value
      - .actual_access:  read_only
        .address_space:  global
        .offset:         48
        .size:           8
        .value_kind:     global_buffer
      - .actual_access:  read_only
        .address_space:  global
        .offset:         56
        .size:           8
        .value_kind:     global_buffer
      - .offset:         64
        .size:           4
        .value_kind:     by_value
      - .actual_access:  read_only
        .address_space:  global
        .offset:         72
        .size:           8
        .value_kind:     global_buffer
      - .actual_access:  read_only
        .address_space:  global
        .offset:         80
        .size:           8
        .value_kind:     global_buffer
      - .actual_access:  read_only
        .address_space:  global
        .offset:         88
        .size:           8
        .value_kind:     global_buffer
      - .actual_access:  write_only
        .address_space:  global
        .offset:         96
        .size:           8
        .value_kind:     global_buffer
    .group_segment_fixed_size: 0
    .kernarg_segment_align: 8
    .kernarg_segment_size: 104
    .language:       OpenCL C
    .language_version:
      - 2
      - 0
    .max_flat_workgroup_size: 238
    .name:           fft_rtc_fwd_len578_factors_17_17_2_wgs_238_tpt_34_halfLds_half_op_CI_CI_unitstride_sbrr_R2C_dirReg
    .private_segment_fixed_size: 0
    .sgpr_count:     32
    .sgpr_spill_count: 0
    .symbol:         fft_rtc_fwd_len578_factors_17_17_2_wgs_238_tpt_34_halfLds_half_op_CI_CI_unitstride_sbrr_R2C_dirReg.kd
    .uniform_work_group_size: 1
    .uses_dynamic_stack: false
    .vgpr_count:     98
    .vgpr_spill_count: 0
    .wavefront_size: 64
amdhsa.target:   amdgcn-amd-amdhsa--gfx906
amdhsa.version:
  - 1
  - 2
...

	.end_amdgpu_metadata
